;; amdgpu-corpus repo=ROCm/aiter kind=harvested arch=n/a opt=n/a

/root/src/amdgpu-assembly/repos/ROCm__aiter/hsa/gfx942/fmoe_2stages/fmoe_stage1_bf16_pertokenFp8_blockscale_g1u1_64x256_pf3.co:	file format elf64-amdgpu

Disassembly of section .text:

0000000000002a00 <_ZN5aiter55fmoe_stage1_bf16_pertokenFp8_blockscale_g1u1_64x256_pf3E>:
	s_and_b32 s1, s1, 0xffff                                   // 000000002A00: 8601FF01 0000FFFF
	s_load_dwordx2 s[8:9], s[0:1], 0x0                         // 000000002A08: C0060200 00000000
	s_load_dwordx2 s[20:21], s[0:1], 0x10                      // 000000002A10: C0060500 00000010
	s_load_dwordx2 s[24:25], s[0:1], 0x20                      // 000000002A18: C0060600 00000020
	s_load_dwordx2 s[48:49], s[0:1], 0x30                      // 000000002A20: C0060C00 00000030
	s_load_dwordx2 s[28:29], s[0:1], 0x40                      // 000000002A28: C0060700 00000040
	s_load_dwordx2 s[32:33], s[0:1], 0x50                      // 000000002A30: C0060800 00000050
	s_load_dwordx2 s[36:37], s[0:1], 0x60                      // 000000002A38: C0060900 00000060
	s_load_dwordx2 s[12:13], s[0:1], 0x70                      // 000000002A40: C0060300 00000070
	s_load_dwordx2 s[44:45], s[0:1], 0x80                      // 000000002A48: C0060B00 00000080
	s_mov_b32 s89, 0                                           // 000000002A50: BED90080
	s_load_dword s64, s[0:1], 0x90                             // 000000002A54: C0021000 00000090
	s_load_dword s65, s[0:1], 0xa0                             // 000000002A5C: C0021040 000000A0
	s_load_dword s66, s[0:1], 0xb0                             // 000000002A64: C0021080 000000B0
	s_load_dword s67, s[0:1], 0xc0                             // 000000002A6C: C00210C0 000000C0
	s_load_dword s68, s[0:1], 0xd0                             // 000000002A74: C0021100 000000D0
	s_load_dword s69, s[0:1], 0xe0                             // 000000002A7C: C0021140 000000E0
	s_load_dword s71, s[0:1], 0xf0                             // 000000002A84: C00211C0 000000F0
	s_load_dword s72, s[0:1], 0x100                            // 000000002A8C: C0021200 00000100
	s_load_dword s74, s[0:1], 0x110                            // 000000002A94: C0021280 00000110
	s_load_dword s76, s[0:1], 0x120                            // 000000002A9C: C0021300 00000120
	s_load_dword s56, s[0:1], 0x130                            // 000000002AA4: C0020E00 00000130
	s_load_dword s88, s[0:1], 0x140                            // 000000002AAC: C0021600 00000140
	s_load_dword s89, s[0:1], 0x150                            // 000000002AB4: C0021640 00000150
	v_lshrrev_b32_e32 v1, 10, v0                               // 000000002ABC: 2002008A
	v_lshrrev_b32_e32 v2, 10, v1                               // 000000002AC0: 2004028A
	v_and_b32_e32 v2, 0x3ff, v2                                // 000000002AC4: 260404FF 000003FF
	v_and_b32_e32 v1, 0x3ff, v1                                // 000000002ACC: 260202FF 000003FF
	v_and_b32_e32 v0, 0x3ff, v0                                // 000000002AD4: 260000FF 000003FF
	v_lshrrev_b32_e32 v3, 6, v0                                // 000000002ADC: 20060086
	v_and_b32_e32 v0, 63, v0                                   // 000000002AE0: 260000BF
	s_mov_b32 s2, s2                                           // 000000002AE4: BE820002
	s_mov_b32 s3, s3                                           // 000000002AE8: BE830003
	s_mov_b32 s4, s4                                           // 000000002AEC: BE840004
	v_readfirstlane_b32 s7, v3                                 // 000000002AF0: 7E0E0503
	s_waitcnt lgkmcnt(0)                                       // 000000002AF4: BF8CC07F
	s_and_b32 s49, s49, 0xffff                                 // 000000002AF8: 8631FF31 0000FFFF
	s_load_dword s48, s[48:49], 0x0                            // 000000002B00: C0020C18 00000000
	s_and_b32 s45, s45, 0xffff                                 // 000000002B08: 862DFF2D 0000FFFF
	s_and_b32 s9, s9, 0xffff                                   // 000000002B10: 8609FF09 0000FFFF
	s_mul_i32 s60, s66, s68                                    // 000000002B18: 923C4442
	s_mul_i32 s61, s66, 4                                      // 000000002B1C: 923D8442
	s_mov_b32 s22, s60                                         // 000000002B20: BE96003C
	s_mov_b32 s26, -16                                         // 000000002B24: BE9A00D0
	s_mov_b32 s30, s61                                         // 000000002B28: BE9E003D
	s_mov_b32 s14, 0x100                                       // 000000002B2C: BE8E00FF 00000100
	s_mov_b32 s38, -16                                         // 000000002B34: BEA600D0
	s_mov_b32 s10, -16                                         // 000000002B38: BE8A00D0
	s_lshr_b32 s60, s64, 7                                     // 000000002B3C: 8F3C8740
	s_mul_i32 s61, s60, 4                                      // 000000002B40: 923D843C
	s_lshr_b32 s60, s65, 7                                     // 000000002B44: 8F3C8741
	s_add_u32 s60, s60, 2                                      // 000000002B48: 803C823C
	s_mul_i32 s60, s60, s61                                    // 000000002B4C: 923C3D3C
	s_mov_b32 s34, s60                                         // 000000002B50: BEA2003C
	s_mov_b32 s23, 0x20000                                     // 000000002B54: BE9700FF 00020000
	s_mov_b32 s27, 0x20000                                     // 000000002B5C: BE9B00FF 00020000
	s_mov_b32 s31, 0x20000                                     // 000000002B64: BE9F00FF 00020000
	s_mov_b32 s35, 0x20000                                     // 000000002B6C: BEA300FF 00020000
	s_mov_b32 s15, 0x20000                                     // 000000002B74: BE8F00FF 00020000
	s_mov_b32 s39, 0x20000                                     // 000000002B7C: BEA700FF 00020000
	s_mov_b32 s11, 0x20000                                     // 000000002B84: BE8B00FF 00020000
	s_and_b32 s21, s21, 0xffff                                 // 000000002B8C: 8615FF15 0000FFFF
	s_and_b32 s25, s25, 0xffff                                 // 000000002B94: 8619FF19 0000FFFF
	s_and_b32 s29, s29, 0xffff                                 // 000000002B9C: 861DFF1D 0000FFFF
	s_and_b32 s33, s33, 0xffff                                 // 000000002BA4: 8621FF21 0000FFFF
	s_and_b32 s13, s13, 0xffff                                 // 000000002BAC: 860DFF0D 0000FFFF
	s_and_b32 s37, s37, 0xffff                                 // 000000002BB4: 8625FF25 0000FFFF
	s_or_b32 s21, s21, 0x40000                                 // 000000002BBC: 8715FF15 00040000
	s_or_b32 s25, s25, 0x40000                                 // 000000002BC4: 8719FF19 00040000
	s_or_b32 s29, s29, 0x40000                                 // 000000002BCC: 871DFF1D 00040000
	s_or_b32 s33, s33, 0x40000                                 // 000000002BD4: 8721FF21 00040000
	s_or_b32 s13, s13, 0x40000                                 // 000000002BDC: 870DFF0D 00040000
	s_or_b32 s37, s37, 0x40000                                 // 000000002BE4: 8725FF25 00040000
	v_accvgpr_write_b32 a159, 0                                // 000000002BEC: D3D9409F 18000080
	v_mov_b32_e32 v187, 0                                      // 000000002BF4: 7F760280
	s_waitcnt lgkmcnt(0)                                       // 000000002BF8: BF8CC07F
	s_mul_i32 s60, s3, 64                                      // 000000002BFC: 923CC003
	s_cmp_lt_i32 s60, s48                                      // 000000002C00: BF04303C
	s_cbranch_scc0 label_3F60                                  // 000000002C04: BF843EDB
	s_mov_b32 s80, 0                                           // 000000002C08: BED00080
	s_lshr_b32 s81, s64, s88                                   // 000000002C0C: 8F515840
	s_mul_i32 s60, s3, 4                                       // 000000002C10: 923C8403
	s_add_u32 s44, s60, s44                                    // 000000002C14: 802C2C3C
	s_addc_u32 s45, 0, s45                                     // 000000002C18: 822D2D80
	s_load_dword s5, s[44:45], 0x0                             // 000000002C1C: C0020156 00000000
	s_mul_i32 s60, s3, 64                                      // 000000002C24: 923CC003
	s_mul_i32 s60, 4, s60                                      // 000000002C28: 923C3C84
	s_add_u32 s12, s60, s12                                    // 000000002C2C: 800C0C3C
	s_addc_u32 s13, 0, s13                                     // 000000002C30: 820D0D80
	v_and_b32_e32 v4, 15, v0                                   // 000000002C34: 2608008F
	v_lshlrev_b32_e32 v4, 2, v4                                // 000000002C38: 24080882
	buffer_load_dword v30, v4, s[12:15], 0 offen               // 000000002C3C: E0501000 80031E04
	v_add_u32_e32 v4, 64, v4                                   // 000000002C44: 680808C0
	buffer_load_dword v31, v4, s[12:15], 0 offen               // 000000002C48: E0501000 80031F04
	v_add_u32_e32 v4, 64, v4                                   // 000000002C50: 680808C0
	buffer_load_dword v32, v4, s[12:15], 0 offen               // 000000002C54: E0501000 80032004
	v_add_u32_e32 v4, 64, v4                                   // 000000002C5C: 680808C0
	buffer_load_dword v33, v4, s[12:15], 0 offen               // 000000002C60: E0501000 80032104
	v_add_u32_e32 v4, 64, v4                                   // 000000002C68: 680808C0
	s_mul_i32 s60, 4, s7                                       // 000000002C6C: 923C0784
	v_lshlrev_b32_e32 v4, 4, v0                                // 000000002C70: 24080084
	v_add_u32_e32 v4, s60, v4                                  // 000000002C74: 6808083C
	buffer_load_dword v3, v4, s[12:15], 0 offen                // 000000002C78: E0501000 80030304
	v_mov_b32_e32 v60, 0                                       // 000000002C80: 7E780280
	v_mov_b32_e32 v124, 0                                      // 000000002C84: 7EF80280
	v_mov_b32_e32 v61, 0                                       // 000000002C88: 7E7A0280
	v_mov_b32_e32 v125, 0                                      // 000000002C8C: 7EFA0280
	v_mov_b32_e32 v62, 0                                       // 000000002C90: 7E7C0280
	v_mov_b32_e32 v126, 0                                      // 000000002C94: 7EFC0280
	v_mov_b32_e32 v63, 0                                       // 000000002C98: 7E7E0280
	v_mov_b32_e32 v127, 0                                      // 000000002C9C: 7EFE0280
	v_mov_b32_e32 v64, 0                                       // 000000002CA0: 7E800280
	v_mov_b32_e32 v128, 0                                      // 000000002CA4: 7F000280
	v_mov_b32_e32 v65, 0                                       // 000000002CA8: 7E820280
	v_mov_b32_e32 v129, 0                                      // 000000002CAC: 7F020280
	v_mov_b32_e32 v66, 0                                       // 000000002CB0: 7E840280
	v_mov_b32_e32 v130, 0                                      // 000000002CB4: 7F040280
	v_mov_b32_e32 v67, 0                                       // 000000002CB8: 7E860280
	v_mov_b32_e32 v131, 0                                      // 000000002CBC: 7F060280
	v_mov_b32_e32 v68, 0                                       // 000000002CC0: 7E880280
	v_mov_b32_e32 v132, 0                                      // 000000002CC4: 7F080280
	v_mov_b32_e32 v69, 0                                       // 000000002CC8: 7E8A0280
	v_mov_b32_e32 v133, 0                                      // 000000002CCC: 7F0A0280
	v_mov_b32_e32 v70, 0                                       // 000000002CD0: 7E8C0280
	v_mov_b32_e32 v134, 0                                      // 000000002CD4: 7F0C0280
	v_mov_b32_e32 v71, 0                                       // 000000002CD8: 7E8E0280
	v_mov_b32_e32 v135, 0                                      // 000000002CDC: 7F0E0280
	v_mov_b32_e32 v72, 0                                       // 000000002CE0: 7E900280
	v_mov_b32_e32 v136, 0                                      // 000000002CE4: 7F100280
	v_mov_b32_e32 v73, 0                                       // 000000002CE8: 7E920280
	v_mov_b32_e32 v137, 0                                      // 000000002CEC: 7F120280
	v_mov_b32_e32 v74, 0                                       // 000000002CF0: 7E940280
	v_mov_b32_e32 v138, 0                                      // 000000002CF4: 7F140280
	v_mov_b32_e32 v75, 0                                       // 000000002CF8: 7E960280
	v_mov_b32_e32 v139, 0                                      // 000000002CFC: 7F160280
	v_mov_b32_e32 v76, 0                                       // 000000002D00: 7E980280
	v_mov_b32_e32 v140, 0                                      // 000000002D04: 7F180280
	v_mov_b32_e32 v77, 0                                       // 000000002D08: 7E9A0280
	v_mov_b32_e32 v141, 0                                      // 000000002D0C: 7F1A0280
	v_mov_b32_e32 v78, 0                                       // 000000002D10: 7E9C0280
	v_mov_b32_e32 v142, 0                                      // 000000002D14: 7F1C0280
	v_mov_b32_e32 v79, 0                                       // 000000002D18: 7E9E0280
	v_mov_b32_e32 v143, 0                                      // 000000002D1C: 7F1E0280
	v_mov_b32_e32 v80, 0                                       // 000000002D20: 7EA00280
	v_mov_b32_e32 v144, 0                                      // 000000002D24: 7F200280
	v_mov_b32_e32 v81, 0                                       // 000000002D28: 7EA20280
	v_mov_b32_e32 v145, 0                                      // 000000002D2C: 7F220280
	v_mov_b32_e32 v82, 0                                       // 000000002D30: 7EA40280
	v_mov_b32_e32 v146, 0                                      // 000000002D34: 7F240280
	v_mov_b32_e32 v83, 0                                       // 000000002D38: 7EA60280
	v_mov_b32_e32 v147, 0                                      // 000000002D3C: 7F260280
	v_mov_b32_e32 v84, 0                                       // 000000002D40: 7EA80280
	v_mov_b32_e32 v148, 0                                      // 000000002D44: 7F280280
	v_mov_b32_e32 v85, 0                                       // 000000002D48: 7EAA0280
	v_mov_b32_e32 v149, 0                                      // 000000002D4C: 7F2A0280
	v_mov_b32_e32 v86, 0                                       // 000000002D50: 7EAC0280
	v_mov_b32_e32 v150, 0                                      // 000000002D54: 7F2C0280
	v_mov_b32_e32 v87, 0                                       // 000000002D58: 7EAE0280
	v_mov_b32_e32 v151, 0                                      // 000000002D5C: 7F2E0280
	v_mov_b32_e32 v88, 0                                       // 000000002D60: 7EB00280
	v_mov_b32_e32 v152, 0                                      // 000000002D64: 7F300280
	v_mov_b32_e32 v89, 0                                       // 000000002D68: 7EB20280
	v_mov_b32_e32 v153, 0                                      // 000000002D6C: 7F320280
	v_mov_b32_e32 v90, 0                                       // 000000002D70: 7EB40280
	v_mov_b32_e32 v154, 0                                      // 000000002D74: 7F340280
	v_mov_b32_e32 v91, 0                                       // 000000002D78: 7EB60280
	v_mov_b32_e32 v155, 0                                      // 000000002D7C: 7F360280
	v_mov_b32_e32 v92, 0                                       // 000000002D80: 7EB80280
	v_mov_b32_e32 v156, 0                                      // 000000002D84: 7F380280
	v_mov_b32_e32 v93, 0                                       // 000000002D88: 7EBA0280
	v_mov_b32_e32 v157, 0                                      // 000000002D8C: 7F3A0280
	v_mov_b32_e32 v94, 0                                       // 000000002D90: 7EBC0280
	v_mov_b32_e32 v158, 0                                      // 000000002D94: 7F3C0280
	v_mov_b32_e32 v95, 0                                       // 000000002D98: 7EBE0280
	v_mov_b32_e32 v159, 0                                      // 000000002D9C: 7F3E0280
	v_mov_b32_e32 v96, 0                                       // 000000002DA0: 7EC00280
	v_mov_b32_e32 v160, 0                                      // 000000002DA4: 7F400280
	v_mov_b32_e32 v97, 0                                       // 000000002DA8: 7EC20280
	v_mov_b32_e32 v161, 0                                      // 000000002DAC: 7F420280
	v_mov_b32_e32 v98, 0                                       // 000000002DB0: 7EC40280
	v_mov_b32_e32 v162, 0                                      // 000000002DB4: 7F440280
	v_mov_b32_e32 v99, 0                                       // 000000002DB8: 7EC60280
	v_mov_b32_e32 v163, 0                                      // 000000002DBC: 7F460280
	v_mov_b32_e32 v100, 0                                      // 000000002DC0: 7EC80280
	v_mov_b32_e32 v164, 0                                      // 000000002DC4: 7F480280
	v_mov_b32_e32 v101, 0                                      // 000000002DC8: 7ECA0280
	v_mov_b32_e32 v165, 0                                      // 000000002DCC: 7F4A0280
	v_mov_b32_e32 v102, 0                                      // 000000002DD0: 7ECC0280
	v_mov_b32_e32 v166, 0                                      // 000000002DD4: 7F4C0280
	v_mov_b32_e32 v103, 0                                      // 000000002DD8: 7ECE0280
	v_mov_b32_e32 v167, 0                                      // 000000002DDC: 7F4E0280
	v_mov_b32_e32 v104, 0                                      // 000000002DE0: 7ED00280
	v_mov_b32_e32 v168, 0                                      // 000000002DE4: 7F500280
	v_mov_b32_e32 v105, 0                                      // 000000002DE8: 7ED20280
	v_mov_b32_e32 v169, 0                                      // 000000002DEC: 7F520280
	v_mov_b32_e32 v106, 0                                      // 000000002DF0: 7ED40280
	v_mov_b32_e32 v170, 0                                      // 000000002DF4: 7F540280
	v_mov_b32_e32 v107, 0                                      // 000000002DF8: 7ED60280
	v_mov_b32_e32 v171, 0                                      // 000000002DFC: 7F560280
	v_mov_b32_e32 v108, 0                                      // 000000002E00: 7ED80280
	v_mov_b32_e32 v172, 0                                      // 000000002E04: 7F580280
	v_mov_b32_e32 v109, 0                                      // 000000002E08: 7EDA0280
	v_mov_b32_e32 v173, 0                                      // 000000002E0C: 7F5A0280
	v_mov_b32_e32 v110, 0                                      // 000000002E10: 7EDC0280
	v_mov_b32_e32 v174, 0                                      // 000000002E14: 7F5C0280
	v_mov_b32_e32 v111, 0                                      // 000000002E18: 7EDE0280
	v_mov_b32_e32 v175, 0                                      // 000000002E1C: 7F5E0280
	v_mov_b32_e32 v112, 0                                      // 000000002E20: 7EE00280
	v_mov_b32_e32 v176, 0                                      // 000000002E24: 7F600280
	v_mov_b32_e32 v113, 0                                      // 000000002E28: 7EE20280
	v_mov_b32_e32 v177, 0                                      // 000000002E2C: 7F620280
	v_mov_b32_e32 v114, 0                                      // 000000002E30: 7EE40280
	v_mov_b32_e32 v178, 0                                      // 000000002E34: 7F640280
	v_mov_b32_e32 v115, 0                                      // 000000002E38: 7EE60280
	v_mov_b32_e32 v179, 0                                      // 000000002E3C: 7F660280
	v_mov_b32_e32 v116, 0                                      // 000000002E40: 7EE80280
	v_mov_b32_e32 v180, 0                                      // 000000002E44: 7F680280
	v_mov_b32_e32 v117, 0                                      // 000000002E48: 7EEA0280
	v_mov_b32_e32 v181, 0                                      // 000000002E4C: 7F6A0280
	v_mov_b32_e32 v118, 0                                      // 000000002E50: 7EEC0280
	v_mov_b32_e32 v182, 0                                      // 000000002E54: 7F6C0280
	v_mov_b32_e32 v119, 0                                      // 000000002E58: 7EEE0280
	v_mov_b32_e32 v183, 0                                      // 000000002E5C: 7F6E0280
	v_mov_b32_e32 v120, 0                                      // 000000002E60: 7EF00280
	v_mov_b32_e32 v184, 0                                      // 000000002E64: 7F700280
	v_mov_b32_e32 v121, 0                                      // 000000002E68: 7EF20280
	v_mov_b32_e32 v185, 0                                      // 000000002E6C: 7F720280
	v_mov_b32_e32 v122, 0                                      // 000000002E70: 7EF40280
	v_mov_b32_e32 v186, 0                                      // 000000002E74: 7F740280
	v_mov_b32_e32 v123, 0                                      // 000000002E78: 7EF60280
	v_mov_b32_e32 v187, 0                                      // 000000002E7C: 7F760280
	s_mul_i32 s60, s2, 0x100                                   // 000000002E80: 923CFF02 00000100
	s_cmp_eq_u32 s88, 0                                        // 000000002E88: BF068058
	s_cselect_b32 s61, 1, 4                                    // 000000002E8C: 853D8481
	s_mul_i32 s60, s60, s61                                    // 000000002E90: 923C3D3C
	s_mov_b32 s90, s8                                          // 000000002E94: BEDA0008
	s_mov_b32 s91, s9                                          // 000000002E98: BEDB0009
	s_add_u32 s8, s60, s8                                      // 000000002E9C: 8008083C
	s_addc_u32 s9, 0, s9                                       // 000000002EA0: 82090980
	v_lshrrev_b32_e32 v4, 4, v0                                // 000000002EA4: 20080084
	v_mul_lo_u32 v20, 34, v4                                   // 000000002EA8: D2850014 000208A2
	v_and_b32_e32 v4, 15, v0                                   // 000000002EB0: 2608008F
	v_mul_lo_u32 v5, 2, v4                                     // 000000002EB4: D2850005 00020882
	v_add_u32_e32 v20, v5, v20                                 // 000000002EBC: 68282905
	s_mul_i32 s60, s7, 0x88                                    // 000000002EC0: 923CFF07 00000088
	v_add_u32_e32 v20, s60, v20                                // 000000002EC8: 6828283C
	v_lshlrev_b32_e32 v20, 2, v20                              // 000000002ECC: 24282882
	v_and_b32_e32 v4, 31, v0                                   // 000000002ED0: 2608009F
	v_lshrrev_b32_e32 v4, 1, v4                                // 000000002ED4: 20080881
	v_mul_lo_u32 v21, 34, v4                                   // 000000002ED8: D2850015 000208A2
	v_lshrrev_b32_e32 v4, 5, v0                                // 000000002EE0: 20080085
	v_mul_lo_u32 v4, 8, v4                                     // 000000002EE4: D2850004 00020888
	v_add_u32_e32 v21, v21, v4                                 // 000000002EEC: 682A0915
	v_and_b32_e32 v5, 1, v0                                    // 000000002EF0: 260A0081
	v_add_u32_e32 v21, v5, v21                                 // 000000002EF4: 682A2B05
	s_mul_i32 s60, s7, 2                                       // 000000002EF8: 923C8207
	v_add_u32_e32 v21, s60, v21                                // 000000002EFC: 682A2A3C
	v_lshlrev_b32_e32 v21, 2, v21                              // 000000002F00: 242A2A82
	s_mul_i32 s60, s7, 0x820                                   // 000000002F04: 923CFF07 00000820
	s_add_u32 s48, 0, s60                                      // 000000002F0C: 80303C80
	s_add_u32 s49, 0x2080, s48                                 // 000000002F10: 803130FF 00002080
	s_add_u32 s50, 0x2080, s49                                 // 000000002F18: 803231FF 00002080
	v_lshrrev_b32_e32 v4, 4, v0                                // 000000002F20: 20080084
	v_lshlrev_b32_e32 v5, 2, v4                                // 000000002F24: 240A0882
	v_and_b32_e32 v4, 15, v0                                   // 000000002F28: 2608008F
	v_lshrrev_b32_e32 v6, 2, v4                                // 000000002F2C: 200C0882
	v_lshlrev_b32_e32 v6, 5, v6                                // 000000002F30: 240C0C85
	v_add_u32_e32 v5, v6, v5                                   // 000000002F34: 680A0B06
	v_and_b32_e32 v4, 3, v0                                    // 000000002F38: 26080083
	v_mul_u32_u24_e32 v6, 0x208, v4                            // 000000002F3C: 100C08FF 00000208
	v_add_u32_e32 v5, v6, v5                                   // 000000002F44: 680A0B06
	v_lshlrev_b32_e32 v2, 2, v5                                // 000000002F48: 24040A82
	s_waitcnt lgkmcnt(0)                                       // 000000002F4C: BF8CC07F
	s_mul_i32 s60, s2, 0x100                                   // 000000002F50: 923CFF02 00000100
	s_mul_i32 s60, s60, s69                                    // 000000002F58: 923C453C
	s_mul_i32 s61, s5, s72                                     // 000000002F5C: 923D4805
	s_add_u32 s60, s61, s60                                    // 000000002F60: 803C3C3D
	s_add_u32 s24, s60, s24                                    // 000000002F64: 8018183C
	s_addc_u32 s25, 0, s25                                     // 000000002F68: 82191980
	s_lshr_b32 s60, s64, s88                                   // 000000002F6C: 8F3C5840
	s_mul_i32 s60, s4, s60                                     // 000000002F70: 923C3C04
	s_lshr_b32 s60, s60, 7                                     // 000000002F74: 8F3C873C
	s_mul_i32 s60, s60, 0x800                                  // 000000002F78: 923CFF3C 00000800
	s_add_u32 s24, s60, s24                                    // 000000002F80: 8018183C
	s_addc_u32 s25, 0, s25                                     // 000000002F84: 82191980
	s_lshr_b32 s60, s69, s88                                   // 000000002F88: 8F3C5845
	s_mul_i32 s60, s4, s60                                     // 000000002F8C: 923C3C04
	s_add_u32 s20, s60, s20                                    // 000000002F90: 8014143C
	s_addc_u32 s21, 0, s21                                     // 000000002F94: 82151580
	s_mul_i32 s60, s7, 16                                      // 000000002F98: 923C9007
	s_mul_i32 s60, s60, s69                                    // 000000002F9C: 923C453C
	v_lshlrev_b32_e32 v54, 4, v0                               // 000000002FA0: 246C0084
	v_add_u32_e32 v54, s60, v54                                // 000000002FA4: 686C6C3C
	s_mul_i32 s60, 64, s69                                     // 000000002FA8: 923C45C0
	v_add_u32_e32 v55, s60, v54                                // 000000002FAC: 686E6C3C
	v_add_u32_e32 v56, s60, v55                                // 000000002FB0: 68706E3C
	v_add_u32_e32 v57, s60, v56                                // 000000002FB4: 6872703C
	s_mov_b32 s84, s24                                         // 000000002FB8: BED40018
	s_mov_b32 s85, s25                                         // 000000002FBC: BED50019
	s_mov_b32 s86, s26                                         // 000000002FC0: BED6001A
	s_mov_b32 s87, s27                                         // 000000002FC4: BED7001B
	s_mul_i32 s60, s69, s65                                    // 000000002FC8: 923C4145
	s_add_u32 s84, s60, s84                                    // 000000002FCC: 8054543C
	s_addc_u32 s85, 0, s85                                     // 000000002FD0: 82555580
	s_lshr_b32 s60, s64, 7                                     // 000000002FD4: 8F3C8740
	s_mul_i32 s61, s60, 4                                      // 000000002FD8: 923D843C
	v_and_b32_e32 v22, 15, v0                                  // 000000002FDC: 262C008F
	v_mul_lo_u32 v22, v22, s61                                 // 000000002FE0: D2850016 00007B16
	s_lshr_b32 s60, s65, 7                                     // 000000002FE8: 8F3C8741
	s_mul_i32 s60, s60, s61                                    // 000000002FEC: 923C3D3C
	v_add_u32_e64 v23, v22, s60                                // 000000002FF0: D1340017 00007916
	s_mul_i32 s60, s2, 2                                       // 000000002FF8: 923C8202
	s_mul_i32 s60, s60, s61                                    // 000000002FFC: 923C3D3C
	s_mul_i32 s61, s5, s74                                     // 000000003000: 923D4A05
	s_add_u32 s61, s61, s60                                    // 000000003004: 803D3C3D
	s_add_u32 s32, s61, s32                                    // 000000003008: 8020203D
	s_addc_u32 s33, 0, s33                                     // 00000000300C: 82212180
	s_lshr_b32 s60, s64, 7                                     // 000000003010: 8F3C8740
	s_lshr_b32 s60, s60, s88                                   // 000000003014: 8F3C583C
	s_mul_i32 s60, s4, s60                                     // 000000003018: 923C3C04
	s_mul_i32 s61, s60, 4                                      // 00000000301C: 923D843C
	s_add_u32 s32, s61, s32                                    // 000000003020: 8020203D
	s_addc_u32 s33, 0, s33                                     // 000000003024: 82212180
	s_lshl_b32 s62, s66, 2                                     // 000000003028: 8E3E8242
	s_mul_i32 s62, s60, s62                                    // 00000000302C: 923E3E3C
	s_add_u32 s28, s62, s28                                    // 000000003030: 801C1C3E
	s_addc_u32 s29, 0, s29                                     // 000000003034: 821D1D80
	s_mov_b32 s4, 4                                            // 000000003038: BE840084
	s_mov_b32 s57, 0x80                                        // 00000000303C: BEB900FF 00000080
	s_mov_b32 s58, 0x800                                       // 000000003044: BEBA00FF 00000800
	s_mov_b32 s83, s58                                         // 00000000304C: BED3003A
	s_mov_b32 s52, 0x7060302                                   // 000000003050: BEB400FF 07060302
	s_mov_b32 s53, 0x400                                       // 000000003058: BEB500FF 00000400
	s_mov_b32 s54, 0x40100                                     // 000000003060: BEB600FF 00040100
	s_mov_b32 s55, 0x4020100                                   // 000000003068: BEB700FF 04020100
	s_mov_b32 s6, 0x3fb8aa3b                                   // 000000003070: BE8600FF 3FB8AA3B
	s_mov_b32 s78, 0xbd92220c                                  // 000000003078: BECE00FF BD92220C
	s_mov_b32 s79, 0xbd92220c                                  // 000000003080: BECF00FF BD92220C
	s_mov_b32 m0, s48                                          // 000000003088: BEFC0030
	v_mov_b32_e32 v1, 0xbfcc4231                               // 00000000308C: 7E0202FF BFCC4231
	v_mov_b32_e32 v17, 0xffff0000                              // 000000003094: 7E2202FF FFFF0000
	v_mov_b32_e32 v18, 0x7fff0000                              // 00000000309C: 7E2402FF 7FFF0000
	v_mov_b32_e32 v19, 0x7fff                                  // 0000000030A4: 7E2602FF 00007FFF
	s_waitcnt vmcnt(0) expcnt(0) lgkmcnt(0)                    // 0000000030AC: BF8C0000
	v_lshrrev_b32_e32 v4, 5, v0                                // 0000000030B0: 20080085
	v_xor_b32_e32 v5, 1, v4                                    // 0000000030B4: 2A0A0881
	v_readlane_b32 s82, v3, 0                                  // 0000000030B8: D2890052 00010103
	s_and_b32 s82, s82, 0xffffff                               // 0000000030C0: 8652FF52 00FFFFFF
	v_mul_lo_u32 v6, v5, s82                                   // 0000000030C8: D2850006 0000A505
	v_readlane_b32 s82, v3, 1                                  // 0000000030D0: D2890052 00010303
	s_and_b32 s82, s82, 0xffffff                               // 0000000030D8: 8652FF52 00FFFFFF
	v_mul_lo_u32 v7, v4, s82                                   // 0000000030E0: D2850007 0000A504
	v_add_u32_e32 v46, v6, v7                                  // 0000000030E8: 685C0F06
	v_mul_lo_u32 v46, v46, s68                                 // 0000000030EC: D285002E 0000892E
	v_readlane_b32 s82, v3, 2                                  // 0000000030F4: D2890052 00010503
	s_and_b32 s82, s82, 0xffffff                               // 0000000030FC: 8652FF52 00FFFFFF
	v_mul_lo_u32 v6, v5, s82                                   // 000000003104: D2850006 0000A505
	v_readlane_b32 s82, v3, 3                                  // 00000000310C: D2890052 00010703
	s_and_b32 s82, s82, 0xffffff                               // 000000003114: 8652FF52 00FFFFFF
	v_mul_lo_u32 v7, v4, s82                                   // 00000000311C: D2850007 0000A504
	v_add_u32_e32 v47, v6, v7                                  // 000000003124: 685E0F06
	v_mul_lo_u32 v47, v47, s68                                 // 000000003128: D285002F 0000892F
	v_readlane_b32 s82, v3, 4                                  // 000000003130: D2890052 00010903
	s_and_b32 s82, s82, 0xffffff                               // 000000003138: 8652FF52 00FFFFFF
	v_mul_lo_u32 v6, v5, s82                                   // 000000003140: D2850006 0000A505
	v_readlane_b32 s82, v3, 5                                  // 000000003148: D2890052 00010B03
	s_and_b32 s82, s82, 0xffffff                               // 000000003150: 8652FF52 00FFFFFF
	v_mul_lo_u32 v7, v4, s82                                   // 000000003158: D2850007 0000A504
	v_add_u32_e32 v48, v6, v7                                  // 000000003160: 68600F06
	v_mul_lo_u32 v48, v48, s68                                 // 000000003164: D2850030 00008930
	v_readlane_b32 s82, v3, 6                                  // 00000000316C: D2890052 00010D03
	s_and_b32 s82, s82, 0xffffff                               // 000000003174: 8652FF52 00FFFFFF
	v_mul_lo_u32 v6, v5, s82                                   // 00000000317C: D2850006 0000A505
	v_readlane_b32 s82, v3, 7                                  // 000000003184: D2890052 00010F03
	s_and_b32 s82, s82, 0xffffff                               // 00000000318C: 8652FF52 00FFFFFF
	v_mul_lo_u32 v7, v4, s82                                   // 000000003194: D2850007 0000A504
	v_add_u32_e32 v49, v6, v7                                  // 00000000319C: 68620F06
	v_mul_lo_u32 v49, v49, s68                                 // 0000000031A0: D2850031 00008931
	v_readlane_b32 s82, v3, 8                                  // 0000000031A8: D2890052 00011103
	s_and_b32 s82, s82, 0xffffff                               // 0000000031B0: 8652FF52 00FFFFFF
	v_mul_lo_u32 v6, v5, s82                                   // 0000000031B8: D2850006 0000A505
	v_readlane_b32 s82, v3, 9                                  // 0000000031C0: D2890052 00011303
	s_and_b32 s82, s82, 0xffffff                               // 0000000031C8: 8652FF52 00FFFFFF
	v_mul_lo_u32 v7, v4, s82                                   // 0000000031D0: D2850007 0000A504
	v_add_u32_e32 v50, v6, v7                                  // 0000000031D8: 68640F06
	v_mul_lo_u32 v50, v50, s68                                 // 0000000031DC: D2850032 00008932
	v_readlane_b32 s82, v3, 10                                 // 0000000031E4: D2890052 00011503
	s_and_b32 s82, s82, 0xffffff                               // 0000000031EC: 8652FF52 00FFFFFF
	v_mul_lo_u32 v6, v5, s82                                   // 0000000031F4: D2850006 0000A505
	v_readlane_b32 s82, v3, 11                                 // 0000000031FC: D2890052 00011703
	s_and_b32 s82, s82, 0xffffff                               // 000000003204: 8652FF52 00FFFFFF
	v_mul_lo_u32 v7, v4, s82                                   // 00000000320C: D2850007 0000A504
	v_add_u32_e32 v51, v6, v7                                  // 000000003214: 68660F06
	v_mul_lo_u32 v51, v51, s68                                 // 000000003218: D2850033 00008933
	v_readlane_b32 s82, v3, 12                                 // 000000003220: D2890052 00011903
	s_and_b32 s82, s82, 0xffffff                               // 000000003228: 8652FF52 00FFFFFF
	v_mul_lo_u32 v6, v5, s82                                   // 000000003230: D2850006 0000A505
	v_readlane_b32 s82, v3, 13                                 // 000000003238: D2890052 00011B03
	s_and_b32 s82, s82, 0xffffff                               // 000000003240: 8652FF52 00FFFFFF
	v_mul_lo_u32 v7, v4, s82                                   // 000000003248: D2850007 0000A504
	v_add_u32_e32 v52, v6, v7                                  // 000000003250: 68680F06
	v_mul_lo_u32 v52, v52, s68                                 // 000000003254: D2850034 00008934
	v_readlane_b32 s82, v3, 14                                 // 00000000325C: D2890052 00011D03
	s_and_b32 s82, s82, 0xffffff                               // 000000003264: 8652FF52 00FFFFFF
	v_mul_lo_u32 v6, v5, s82                                   // 00000000326C: D2850006 0000A505
	v_readlane_b32 s82, v3, 15                                 // 000000003274: D2890052 00011F03
	s_and_b32 s82, s82, 0xffffff                               // 00000000327C: 8652FF52 00FFFFFF
	v_mul_lo_u32 v7, v4, s82                                   // 000000003284: D2850007 0000A504
	v_add_u32_e32 v53, v6, v7                                  // 00000000328C: 686A0F06
	v_mul_lo_u32 v53, v53, s68                                 // 000000003290: D2850035 00008935
	v_and_b32_e32 v4, 31, v0                                   // 000000003298: 2608009F
	v_lshlrev_b32_e32 v4, 2, v4                                // 00000000329C: 24080882
	v_add_u32_e32 v46, v46, v4                                 // 0000000032A0: 685C092E
	v_add_u32_e32 v47, v47, v4                                 // 0000000032A4: 685E092F
	v_add_u32_e32 v48, v48, v4                                 // 0000000032A8: 68600930
	v_add_u32_e32 v49, v49, v4                                 // 0000000032AC: 68620931
	v_add_u32_e32 v50, v50, v4                                 // 0000000032B0: 68640932
	v_add_u32_e32 v51, v51, v4                                 // 0000000032B4: 68660933
	v_add_u32_e32 v52, v52, v4                                 // 0000000032B8: 68680934
	v_add_u32_e32 v53, v53, v4                                 // 0000000032BC: 686A0935
	v_and_b32_e32 v30, 0xffffff, v30                           // 0000000032C0: 263C3CFF 00FFFFFF
	v_lshlrev_b32_e32 v30, 2, v30                              // 0000000032C8: 243C3C82
	v_and_b32_e32 v31, 0xffffff, v31                           // 0000000032CC: 263E3EFF 00FFFFFF
	v_lshlrev_b32_e32 v31, 2, v31                              // 0000000032D4: 243E3E82
	v_and_b32_e32 v32, 0xffffff, v32                           // 0000000032D8: 264040FF 00FFFFFF
	v_lshlrev_b32_e32 v32, 2, v32                              // 0000000032E0: 24404082
	v_and_b32_e32 v33, 0xffffff, v33                           // 0000000032E4: 264242FF 00FFFFFF
	v_lshlrev_b32_e32 v33, 2, v33                              // 0000000032EC: 24424282
	s_lshl_b32 s3, s66, 2                                      // 0000000032F0: 8E038242
	buffer_load_dword v46, s[20:23], 0 offen lds               // 0000000032F4: E0511000 8005002E
	s_add_u32 m0, 0x100, s48                                   // 0000000032FC: 807C30FF 00000100
	buffer_load_dword v47, s[20:23], 0 offen lds               // 000000003304: E0511000 8005002F
	s_add_u32 m0, 0x200, s48                                   // 00000000330C: 807C30FF 00000200
	buffer_load_dword v48, s[20:23], 0 offen lds               // 000000003314: E0511000 80050030
	s_add_u32 m0, 0x300, s48                                   // 00000000331C: 807C30FF 00000300
	buffer_load_dword v49, s[20:23], 0 offen lds               // 000000003324: E0511000 80050031
	s_add_u32 m0, 0x400, s48                                   // 00000000332C: 807C30FF 00000400
	buffer_load_dword v50, s[20:23], 0 offen lds               // 000000003334: E0511000 80050032
	s_add_u32 m0, 0x500, s48                                   // 00000000333C: 807C30FF 00000500
	buffer_load_dword v51, s[20:23], 0 offen lds               // 000000003344: E0511000 80050033
	s_add_u32 m0, 0x600, s48                                   // 00000000334C: 807C30FF 00000600
	buffer_load_dword v52, s[20:23], 0 offen lds               // 000000003354: E0511000 80050034
	s_add_u32 m0, 0x700, s48                                   // 00000000335C: 807C30FF 00000700
	buffer_load_dword v53, s[20:23], 0 offen lds               // 000000003364: E0511000 80050035
	s_add_u32 m0, 0, s49                                       // 00000000336C: 807C3180
	s_add_u32 s20, s57, s20                                    // 000000003370: 80141439
	s_addc_u32 s21, 0, s21                                     // 000000003374: 82151580
	buffer_load_dword v34, v30, s[28:31], 0 offen              // 000000003378: E0501000 8007221E
	buffer_load_dword v35, v31, s[28:31], 0 offen              // 000000003380: E0501000 8007231F
	buffer_load_dword v36, v32, s[28:31], 0 offen              // 000000003388: E0501000 80072420
	buffer_load_dword v37, v33, s[28:31], 0 offen              // 000000003390: E0501000 80072521
	s_add_u32 s28, s3, s28                                     // 000000003398: 801C1C03
	s_addc_u32 s29, 0, s29                                     // 00000000339C: 821D1D80
	buffer_load_dwordx4 a[64:67], v54, s[24:27], 0 offen       // 0000000033A0: E05C1000 80864036
	buffer_load_dwordx4 a[68:71], v54, s[24:27], 0 offen offset:1024// 0000000033A8: E05C1400 80864436
	buffer_load_dwordx4 a[72:75], v55, s[24:27], 0 offen       // 0000000033B0: E05C1000 80864837
	buffer_load_dwordx4 a[76:79], v55, s[24:27], 0 offen offset:1024// 0000000033B8: E05C1400 80864C37
	buffer_load_dwordx4 a[80:83], v56, s[24:27], 0 offen       // 0000000033C0: E05C1000 80865038
	buffer_load_dwordx4 a[84:87], v56, s[24:27], 0 offen offset:1024// 0000000033C8: E05C1400 80865438
	buffer_load_dwordx4 a[88:91], v57, s[24:27], 0 offen       // 0000000033D0: E05C1000 80865839
	buffer_load_dwordx4 a[92:95], v57, s[24:27], 0 offen offset:1024// 0000000033D8: E05C1400 80865C39
	s_add_u32 s24, s58, s24                                    // 0000000033E0: 8018183A
	s_addc_u32 s25, 0, s25                                     // 0000000033E4: 82191980
	buffer_load_dword v24, v22, s[32:35], 0 offen              // 0000000033E8: E0501000 80081816
	buffer_load_dword v46, s[20:23], 0 offen lds               // 0000000033F0: E0511000 8005002E
	s_add_u32 m0, 0x100, s49                                   // 0000000033F8: 807C31FF 00000100
	buffer_load_dword v47, s[20:23], 0 offen lds               // 000000003400: E0511000 8005002F
	s_add_u32 m0, 0x200, s49                                   // 000000003408: 807C31FF 00000200
	buffer_load_dword v48, s[20:23], 0 offen lds               // 000000003410: E0511000 80050030
	s_add_u32 m0, 0x300, s49                                   // 000000003418: 807C31FF 00000300
	buffer_load_dword v49, s[20:23], 0 offen lds               // 000000003420: E0511000 80050031
	;; [unrolled: 2-line block ×6, first 2 shown]
	s_add_u32 m0, 0, s50                                       // 000000003468: 807C3280
	s_add_u32 s20, s57, s20                                    // 00000000346C: 80141439
	s_addc_u32 s21, 0, s21                                     // 000000003470: 82151580
	buffer_load_dword v38, v30, s[28:31], 0 offen              // 000000003474: E0501000 8007261E
	buffer_load_dword v39, v31, s[28:31], 0 offen              // 00000000347C: E0501000 8007271F
	buffer_load_dword v40, v32, s[28:31], 0 offen              // 000000003484: E0501000 80072820
	buffer_load_dword v41, v33, s[28:31], 0 offen              // 00000000348C: E0501000 80072921
	s_add_u32 s28, s3, s28                                     // 000000003494: 801C1C03
	s_addc_u32 s29, 0, s29                                     // 000000003498: 821D1D80
	buffer_load_dwordx4 a[96:99], v54, s[84:87], 0 offen       // 00000000349C: E05C1000 80956036
	buffer_load_dwordx4 a[100:103], v54, s[84:87], 0 offen offset:1024// 0000000034A4: E05C1400 80956436
	buffer_load_dwordx4 a[104:107], v55, s[84:87], 0 offen     // 0000000034AC: E05C1000 80956837
	buffer_load_dwordx4 a[108:111], v55, s[84:87], 0 offen offset:1024// 0000000034B4: E05C1400 80956C37
	buffer_load_dwordx4 a[112:115], v56, s[84:87], 0 offen     // 0000000034BC: E05C1000 80957038
	buffer_load_dwordx4 a[116:119], v56, s[84:87], 0 offen offset:1024// 0000000034C4: E05C1400 80957438
	buffer_load_dwordx4 a[120:123], v57, s[84:87], 0 offen     // 0000000034CC: E05C1000 80957839
	buffer_load_dwordx4 a[124:127], v57, s[84:87], 0 offen offset:1024// 0000000034D4: E05C1400 80957C39
	s_add_u32 s84, s83, s84                                    // 0000000034DC: 80545453
	s_addc_u32 s85, 0, s85                                     // 0000000034E0: 82555580
	buffer_load_dword v27, v23, s[32:35], 0 offen              // 0000000034E4: E0501000 80081B17
	s_add_u32 s32, s4, s32                                     // 0000000034EC: 80202004
	s_addc_u32 s33, 0, s33                                     // 0000000034F0: 82212180
	s_waitcnt vmcnt(34)                                        // 0000000034F4: BF8C8F72
	s_barrier                                                  // 0000000034F8: BF8A0000
	ds_read_b128 a[0:3], v2                                    // 0000000034FC: DBFE0000 00000002
	ds_read_b128 a[4:7], v2 offset:64                          // 000000003504: DBFE0040 04000002
	ds_read_b128 a[8:11], v2 offset:512                        // 00000000350C: DBFE0200 08000002
	ds_read_b128 a[12:15], v2 offset:576                       // 000000003514: DBFE0240 0C000002
	ds_read_b128 a[16:19], v2 offset:1024                      // 00000000351C: DBFE0400 10000002
	ds_read_b128 a[20:23], v2 offset:1088                      // 000000003524: DBFE0440 14000002
	ds_read_b128 a[24:27], v2 offset:1536                      // 00000000352C: DBFE0600 18000002
	ds_read_b128 a[28:31], v2 offset:1600                      // 000000003534: DBFE0640 1C000002
	s_cmp_lt_i32 s7, 2                                         // 00000000353C: BF048207
	s_cbranch_scc0 label_211A                                  // 000000003540: BF841E46

0000000000003544 <label_02D1>:
	s_waitcnt vmcnt(21) lgkmcnt(0)                             // 000000003544: BF8C4075
	v_mul_f32_dpp v4, v24, v34 row_newbcast:0 row_mask:0xf bank_mask:0xf// 000000003548: 0A0844FA FF015018
	v_mfma_f32_16x16x32_fp8_fp8 v[8:11], a[64:65], a[0:1], 0   // 000000003550: D3F30008 1A020140
	buffer_load_dword v25, v22, s[32:35], 0 offen              // 000000003558: E0501000 80081916
	v_mfma_f32_16x16x32_fp8_fp8 v[8:11], a[66:67], a[2:3], v[8:11]// 000000003560: D3F30008 1C220542
	buffer_load_dwordx4 a[128:131], v54, s[24:27], 0 offen     // 000000003568: E05C1000 80868036
	v_mfma_f32_16x16x32_fp8_fp8 v[8:11], a[68:69], a[4:5], v[8:11]// 000000003570: D3F30008 1C220944
	v_mfma_f32_16x16x32_fp8_fp8 v[8:11], a[70:71], a[6:7], v[8:11]// 000000003578: D3F30008 1C220D46
	v_mfma_f32_16x16x32_fp8_fp8 v[12:15], a[72:73], a[0:1], 0  // 000000003580: D3F3000C 1A020148
	v_mfma_f32_16x16x32_fp8_fp8 v[12:15], a[74:75], a[2:3], v[12:15]// 000000003588: D3F3000C 1C32054A
	buffer_load_dwordx4 a[132:135], v54, s[24:27], 0 offen offset:1024// 000000003590: E05C1400 80868436
	v_mfma_f32_16x16x32_fp8_fp8 v[12:15], a[76:77], a[4:5], v[12:15]// 000000003598: D3F3000C 1C32094C
	v_mfma_f32_16x16x32_fp8_fp8 v[12:15], a[78:79], a[6:7], v[12:15]// 0000000035A0: D3F3000C 1C320D4E
	v_fma_f32 v60, v8, v4, v60                                 // 0000000035A8: D1CB003C 04F20908
	v_fma_f32 v61, v9, v4, v61                                 // 0000000035B0: D1CB003D 04F60909
	v_fma_f32 v62, v10, v4, v62                                // 0000000035B8: D1CB003E 04FA090A
	v_fma_f32 v63, v11, v4, v63                                // 0000000035C0: D1CB003F 04FE090B
	v_mul_f32_dpp v6, v24, v34 row_newbcast:1 row_mask:0xf bank_mask:0xf// 0000000035C8: 0A0C44FA FF015118
	v_mfma_f32_16x16x32_fp8_fp8 v[8:11], a[80:81], a[0:1], 0   // 0000000035D0: D3F30008 1A020150
	v_mfma_f32_16x16x32_fp8_fp8 v[8:11], a[82:83], a[2:3], v[8:11]// 0000000035D8: D3F30008 1C220552
	buffer_load_dwordx4 a[136:139], v55, s[24:27], 0 offen     // 0000000035E0: E05C1000 80868837
	v_mfma_f32_16x16x32_fp8_fp8 v[8:11], a[84:85], a[4:5], v[8:11]// 0000000035E8: D3F30008 1C220954
	v_mfma_f32_16x16x32_fp8_fp8 v[8:11], a[86:87], a[6:7], v[8:11]// 0000000035F0: D3F30008 1C220D56
	v_fma_f32 v76, v12, v4, v76                                // 0000000035F8: D1CB004C 0532090C
	v_fma_f32 v77, v13, v4, v77                                // 000000003600: D1CB004D 0536090D
	v_fma_f32 v78, v14, v4, v78                                // 000000003608: D1CB004E 053A090E
	v_fma_f32 v79, v15, v4, v79                                // 000000003610: D1CB004F 053E090F
	v_mfma_f32_16x16x32_fp8_fp8 v[12:15], a[88:89], a[0:1], 0  // 000000003618: D3F3000C 1A020158
	v_mfma_f32_16x16x32_fp8_fp8 v[12:15], a[90:91], a[2:3], v[12:15]// 000000003620: D3F3000C 1C32055A
	buffer_load_dwordx4 a[140:143], v55, s[24:27], 0 offen offset:1024// 000000003628: E05C1400 80868C37
	v_mfma_f32_16x16x32_fp8_fp8 v[12:15], a[92:93], a[4:5], v[12:15]// 000000003630: D3F3000C 1C32095C
	v_mfma_f32_16x16x32_fp8_fp8 v[12:15], a[94:95], a[6:7], v[12:15]// 000000003638: D3F3000C 1C320D5E
	v_fma_f32 v92, v8, v6, v92                                 // 000000003640: D1CB005C 05720D08
	v_fma_f32 v93, v9, v6, v93                                 // 000000003648: D1CB005D 05760D09
	v_fma_f32 v94, v10, v6, v94                                // 000000003650: D1CB005E 057A0D0A
	v_fma_f32 v95, v11, v6, v95                                // 000000003658: D1CB005F 057E0D0B
	v_mul_f32_dpp v4, v24, v35 row_newbcast:0 row_mask:0xf bank_mask:0xf// 000000003660: 0A0846FA FF015018
	v_mfma_f32_16x16x32_fp8_fp8 v[8:11], a[64:65], a[8:9], 0   // 000000003668: D3F30008 1A021140
	v_mfma_f32_16x16x32_fp8_fp8 v[8:11], a[66:67], a[10:11], v[8:11]// 000000003670: D3F30008 1C221542
	buffer_load_dwordx4 a[144:147], v56, s[24:27], 0 offen     // 000000003678: E05C1000 80869038
	v_mfma_f32_16x16x32_fp8_fp8 v[8:11], a[68:69], a[12:13], v[8:11]// 000000003680: D3F30008 1C221944
	v_mfma_f32_16x16x32_fp8_fp8 v[8:11], a[70:71], a[14:15], v[8:11]// 000000003688: D3F30008 1C221D46
	v_fma_f32 v108, v12, v6, v108                              // 000000003690: D1CB006C 05B20D0C
	v_fma_f32 v109, v13, v6, v109                              // 000000003698: D1CB006D 05B60D0D
	v_fma_f32 v110, v14, v6, v110                              // 0000000036A0: D1CB006E 05BA0D0E
	v_fma_f32 v111, v15, v6, v111                              // 0000000036A8: D1CB006F 05BE0D0F
	v_mfma_f32_16x16x32_fp8_fp8 v[12:15], a[72:73], a[8:9], 0  // 0000000036B0: D3F3000C 1A021148
	v_mfma_f32_16x16x32_fp8_fp8 v[12:15], a[74:75], a[10:11], v[12:15]// 0000000036B8: D3F3000C 1C32154A
	buffer_load_dwordx4 a[148:151], v56, s[24:27], 0 offen offset:1024// 0000000036C0: E05C1400 80869438
	v_mfma_f32_16x16x32_fp8_fp8 v[12:15], a[76:77], a[12:13], v[12:15]// 0000000036C8: D3F3000C 1C32194C
	v_mfma_f32_16x16x32_fp8_fp8 v[12:15], a[78:79], a[14:15], v[12:15]// 0000000036D0: D3F3000C 1C321D4E
	v_fma_f32 v64, v8, v4, v64                                 // 0000000036D8: D1CB0040 05020908
	v_fma_f32 v65, v9, v4, v65                                 // 0000000036E0: D1CB0041 05060909
	v_fma_f32 v66, v10, v4, v66                                // 0000000036E8: D1CB0042 050A090A
	v_fma_f32 v67, v11, v4, v67                                // 0000000036F0: D1CB0043 050E090B
	v_mul_f32_dpp v6, v24, v35 row_newbcast:1 row_mask:0xf bank_mask:0xf// 0000000036F8: 0A0C46FA FF015118
	v_mfma_f32_16x16x32_fp8_fp8 v[8:11], a[80:81], a[8:9], 0   // 000000003700: D3F30008 1A021150
	v_mfma_f32_16x16x32_fp8_fp8 v[8:11], a[82:83], a[10:11], v[8:11]// 000000003708: D3F30008 1C221552
	buffer_load_dwordx4 a[152:155], v57, s[24:27], 0 offen     // 000000003710: E05C1000 80869839
	v_mfma_f32_16x16x32_fp8_fp8 v[8:11], a[84:85], a[12:13], v[8:11]// 000000003718: D3F30008 1C221954
	v_mfma_f32_16x16x32_fp8_fp8 v[8:11], a[86:87], a[14:15], v[8:11]// 000000003720: D3F30008 1C221D56
	v_fma_f32 v80, v12, v4, v80                                // 000000003728: D1CB0050 0542090C
	v_fma_f32 v81, v13, v4, v81                                // 000000003730: D1CB0051 0546090D
	v_fma_f32 v82, v14, v4, v82                                // 000000003738: D1CB0052 054A090E
	v_fma_f32 v83, v15, v4, v83                                // 000000003740: D1CB0053 054E090F
	v_mfma_f32_16x16x32_fp8_fp8 v[12:15], a[88:89], a[8:9], 0  // 000000003748: D3F3000C 1A021158
	v_mfma_f32_16x16x32_fp8_fp8 v[12:15], a[90:91], a[10:11], v[12:15]// 000000003750: D3F3000C 1C32155A
	buffer_load_dwordx4 a[156:159], v57, s[24:27], 0 offen offset:1024// 000000003758: E05C1400 80869C39
	buffer_load_dword v46, s[20:23], 0 offen lds               // 000000003760: E0511000 8005002E
	s_add_u32 m0, 0x100, s50                                   // 000000003768: 807C32FF 00000100
	v_mfma_f32_16x16x32_fp8_fp8 v[12:15], a[92:93], a[12:13], v[12:15]// 000000003770: D3F3000C 1C32195C
	v_mfma_f32_16x16x32_fp8_fp8 v[12:15], a[94:95], a[14:15], v[12:15]// 000000003778: D3F3000C 1C321D5E
	buffer_load_dword v47, s[20:23], 0 offen lds               // 000000003780: E0511000 8005002F
	s_add_u32 m0, 0x200, s50                                   // 000000003788: 807C32FF 00000200
	v_fma_f32 v96, v8, v6, v96                                 // 000000003790: D1CB0060 05820D08
	v_fma_f32 v97, v9, v6, v97                                 // 000000003798: D1CB0061 05860D09
	v_fma_f32 v98, v10, v6, v98                                // 0000000037A0: D1CB0062 058A0D0A
	v_fma_f32 v99, v11, v6, v99                                // 0000000037A8: D1CB0063 058E0D0B
	v_mul_f32_dpp v4, v24, v36 row_newbcast:0 row_mask:0xf bank_mask:0xf// 0000000037B0: 0A0848FA FF015018
	v_mfma_f32_16x16x32_fp8_fp8 v[8:11], a[64:65], a[16:17], 0 // 0000000037B8: D3F30008 1A022140
	v_mfma_f32_16x16x32_fp8_fp8 v[8:11], a[66:67], a[18:19], v[8:11]// 0000000037C0: D3F30008 1C222542
	buffer_load_dword v48, s[20:23], 0 offen lds               // 0000000037C8: E0511000 80050030
	s_add_u32 m0, 0x300, s50                                   // 0000000037D0: 807C32FF 00000300
	v_mfma_f32_16x16x32_fp8_fp8 v[8:11], a[68:69], a[20:21], v[8:11]// 0000000037D8: D3F30008 1C222944
	v_mfma_f32_16x16x32_fp8_fp8 v[8:11], a[70:71], a[22:23], v[8:11]// 0000000037E0: D3F30008 1C222D46
	buffer_load_dword v49, s[20:23], 0 offen lds               // 0000000037E8: E0511000 80050031
	s_add_u32 m0, 0x400, s50                                   // 0000000037F0: 807C32FF 00000400
	v_fma_f32 v112, v12, v6, v112                              // 0000000037F8: D1CB0070 05C20D0C
	v_fma_f32 v113, v13, v6, v113                              // 000000003800: D1CB0071 05C60D0D
	v_fma_f32 v114, v14, v6, v114                              // 000000003808: D1CB0072 05CA0D0E
	v_fma_f32 v115, v15, v6, v115                              // 000000003810: D1CB0073 05CE0D0F
	v_mfma_f32_16x16x32_fp8_fp8 v[12:15], a[72:73], a[16:17], 0// 000000003818: D3F3000C 1A022148
	v_mfma_f32_16x16x32_fp8_fp8 v[12:15], a[74:75], a[18:19], v[12:15]// 000000003820: D3F3000C 1C32254A
	buffer_load_dword v50, s[20:23], 0 offen lds               // 000000003828: E0511000 80050032
	s_add_u32 m0, 0x500, s50                                   // 000000003830: 807C32FF 00000500
	v_mfma_f32_16x16x32_fp8_fp8 v[12:15], a[76:77], a[20:21], v[12:15]// 000000003838: D3F3000C 1C32294C
	v_mfma_f32_16x16x32_fp8_fp8 v[12:15], a[78:79], a[22:23], v[12:15]// 000000003840: D3F3000C 1C322D4E
	buffer_load_dword v51, s[20:23], 0 offen lds               // 000000003848: E0511000 80050033
	s_add_u32 m0, 0x600, s50                                   // 000000003850: 807C32FF 00000600
	v_fma_f32 v68, v8, v4, v68                                 // 000000003858: D1CB0044 05120908
	v_fma_f32 v69, v9, v4, v69                                 // 000000003860: D1CB0045 05160909
	v_fma_f32 v70, v10, v4, v70                                // 000000003868: D1CB0046 051A090A
	v_fma_f32 v71, v11, v4, v71                                // 000000003870: D1CB0047 051E090B
	v_mul_f32_dpp v6, v24, v36 row_newbcast:1 row_mask:0xf bank_mask:0xf// 000000003878: 0A0C48FA FF015118
	v_mfma_f32_16x16x32_fp8_fp8 v[8:11], a[80:81], a[16:17], 0 // 000000003880: D3F30008 1A022150
	v_mfma_f32_16x16x32_fp8_fp8 v[8:11], a[82:83], a[18:19], v[8:11]// 000000003888: D3F30008 1C222552
	buffer_load_dword v52, s[20:23], 0 offen lds               // 000000003890: E0511000 80050034
	s_add_u32 m0, 0x700, s50                                   // 000000003898: 807C32FF 00000700
	v_mfma_f32_16x16x32_fp8_fp8 v[8:11], a[84:85], a[20:21], v[8:11]// 0000000038A0: D3F30008 1C222954
	v_mfma_f32_16x16x32_fp8_fp8 v[8:11], a[86:87], a[22:23], v[8:11]// 0000000038A8: D3F30008 1C222D56
	buffer_load_dword v53, s[20:23], 0 offen lds               // 0000000038B0: E0511000 80050035
	s_add_u32 m0, 0, s48                                       // 0000000038B8: 807C3080
	v_fma_f32 v84, v12, v4, v84                                // 0000000038BC: D1CB0054 0552090C
	v_fma_f32 v85, v13, v4, v85                                // 0000000038C4: D1CB0055 0556090D
	v_fma_f32 v86, v14, v4, v86                                // 0000000038CC: D1CB0056 055A090E
	v_fma_f32 v87, v15, v4, v87                                // 0000000038D4: D1CB0057 055E090F
	v_mfma_f32_16x16x32_fp8_fp8 v[12:15], a[88:89], a[16:17], 0// 0000000038DC: D3F3000C 1A022158
	v_mfma_f32_16x16x32_fp8_fp8 v[12:15], a[90:91], a[18:19], v[12:15]// 0000000038E4: D3F3000C 1C32255A
	buffer_load_dword v42, v30, s[28:31], 0 offen              // 0000000038EC: E0501000 80072A1E
	v_mfma_f32_16x16x32_fp8_fp8 v[12:15], a[92:93], a[20:21], v[12:15]// 0000000038F4: D3F3000C 1C32295C
	v_mfma_f32_16x16x32_fp8_fp8 v[12:15], a[94:95], a[22:23], v[12:15]// 0000000038FC: D3F3000C 1C322D5E
	buffer_load_dword v43, v31, s[28:31], 0 offen              // 000000003904: E0501000 80072B1F
	v_fma_f32 v100, v8, v6, v100                               // 00000000390C: D1CB0064 05920D08
	v_fma_f32 v101, v9, v6, v101                               // 000000003914: D1CB0065 05960D09
	v_fma_f32 v102, v10, v6, v102                              // 00000000391C: D1CB0066 059A0D0A
	v_fma_f32 v103, v11, v6, v103                              // 000000003924: D1CB0067 059E0D0B
	v_mul_f32_dpp v4, v24, v37 row_newbcast:0 row_mask:0xf bank_mask:0xf// 00000000392C: 0A084AFA FF015018
	v_mfma_f32_16x16x32_fp8_fp8 v[8:11], a[64:65], a[24:25], 0 // 000000003934: D3F30008 1A023140
	v_mfma_f32_16x16x32_fp8_fp8 v[8:11], a[66:67], a[26:27], v[8:11]// 00000000393C: D3F30008 1C223542
	buffer_load_dword v44, v32, s[28:31], 0 offen              // 000000003944: E0501000 80072C20
	v_mfma_f32_16x16x32_fp8_fp8 v[8:11], a[68:69], a[28:29], v[8:11]// 00000000394C: D3F30008 1C223944
	v_mfma_f32_16x16x32_fp8_fp8 v[8:11], a[70:71], a[30:31], v[8:11]// 000000003954: D3F30008 1C223D46
	buffer_load_dword v45, v33, s[28:31], 0 offen              // 00000000395C: E0501000 80072D21
	v_fma_f32 v116, v12, v6, v116                              // 000000003964: D1CB0074 05D20D0C
	v_fma_f32 v117, v13, v6, v117                              // 00000000396C: D1CB0075 05D60D0D
	v_fma_f32 v118, v14, v6, v118                              // 000000003974: D1CB0076 05DA0D0E
	v_fma_f32 v119, v15, v6, v119                              // 00000000397C: D1CB0077 05DE0D0F
	v_mfma_f32_16x16x32_fp8_fp8 v[12:15], a[72:73], a[24:25], 0// 000000003984: D3F3000C 1A023148
	v_mfma_f32_16x16x32_fp8_fp8 v[12:15], a[74:75], a[26:27], v[12:15]// 00000000398C: D3F3000C 1C32354A
	v_mfma_f32_16x16x32_fp8_fp8 v[12:15], a[76:77], a[28:29], v[12:15]// 000000003994: D3F3000C 1C32394C
	v_mfma_f32_16x16x32_fp8_fp8 v[12:15], a[78:79], a[30:31], v[12:15]// 00000000399C: D3F3000C 1C323D4E
	v_fma_f32 v72, v8, v4, v72                                 // 0000000039A4: D1CB0048 05220908
	v_fma_f32 v73, v9, v4, v73                                 // 0000000039AC: D1CB0049 05260909
	v_fma_f32 v74, v10, v4, v74                                // 0000000039B4: D1CB004A 052A090A
	v_fma_f32 v75, v11, v4, v75                                // 0000000039BC: D1CB004B 052E090B
	v_mul_f32_dpp v6, v24, v37 row_newbcast:1 row_mask:0xf bank_mask:0xf// 0000000039C4: 0A0C4AFA FF015118
	v_mfma_f32_16x16x32_fp8_fp8 v[8:11], a[80:81], a[24:25], 0 // 0000000039CC: D3F30008 1A023150
	v_mfma_f32_16x16x32_fp8_fp8 v[8:11], a[82:83], a[26:27], v[8:11]// 0000000039D4: D3F30008 1C223552
	v_mfma_f32_16x16x32_fp8_fp8 v[8:11], a[84:85], a[28:29], v[8:11]// 0000000039DC: D3F30008 1C223954
	v_mfma_f32_16x16x32_fp8_fp8 v[8:11], a[86:87], a[30:31], v[8:11]// 0000000039E4: D3F30008 1C223D56
	v_fma_f32 v88, v12, v4, v88                                // 0000000039EC: D1CB0058 0562090C
	v_fma_f32 v89, v13, v4, v89                                // 0000000039F4: D1CB0059 0566090D
	v_fma_f32 v90, v14, v4, v90                                // 0000000039FC: D1CB005A 056A090E
	v_fma_f32 v91, v15, v4, v91                                // 000000003A04: D1CB005B 056E090F
	v_mfma_f32_16x16x32_fp8_fp8 v[12:15], a[88:89], a[24:25], 0// 000000003A0C: D3F3000C 1A023158
	v_mfma_f32_16x16x32_fp8_fp8 v[12:15], a[90:91], a[26:27], v[12:15]// 000000003A14: D3F3000C 1C32355A
	v_mfma_f32_16x16x32_fp8_fp8 v[12:15], a[92:93], a[28:29], v[12:15]// 000000003A1C: D3F3000C 1C32395C
	v_mfma_f32_16x16x32_fp8_fp8 v[12:15], a[94:95], a[30:31], v[12:15]// 000000003A24: D3F3000C 1C323D5E
	v_fma_f32 v104, v8, v6, v104                               // 000000003A2C: D1CB0068 05A20D08
	v_fma_f32 v105, v9, v6, v105                               // 000000003A34: D1CB0069 05A60D09
	v_fma_f32 v106, v10, v6, v106                              // 000000003A3C: D1CB006A 05AA0D0A
	v_fma_f32 v107, v11, v6, v107                              // 000000003A44: D1CB006B 05AE0D0B
	v_fma_f32 v120, v12, v6, v120                              // 000000003A4C: D1CB0078 05E20D0C
	v_fma_f32 v121, v13, v6, v121                              // 000000003A54: D1CB0079 05E60D0D
	v_fma_f32 v122, v14, v6, v122                              // 000000003A5C: D1CB007A 05EA0D0E
	v_fma_f32 v123, v15, v6, v123                              // 000000003A64: D1CB007B 05EE0D0F
	s_waitcnt vmcnt(21)                                        // 000000003A6C: BF8C4F75
	s_barrier                                                  // 000000003A70: BF8A0000
	v_mul_f32_dpp v4, v27, v34 row_newbcast:0 row_mask:0xf bank_mask:0xf// 000000003A74: 0A0844FA FF01501B
	v_mfma_f32_16x16x32_fp8_fp8 v[8:11], a[96:97], a[0:1], 0   // 000000003A7C: D3F30008 1A020160
	buffer_load_dword v28, v23, s[32:35], 0 offen              // 000000003A84: E0501000 80081C17
	v_mfma_f32_16x16x32_fp8_fp8 v[8:11], a[98:99], a[2:3], v[8:11]// 000000003A8C: D3F30008 1C220562
	buffer_load_dwordx4 a[64:67], v54, s[84:87], 0 offen       // 000000003A94: E05C1000 80954036
	v_mfma_f32_16x16x32_fp8_fp8 v[8:11], a[100:101], a[4:5], v[8:11]// 000000003A9C: D3F30008 1C220964
	v_mfma_f32_16x16x32_fp8_fp8 v[8:11], a[102:103], a[6:7], v[8:11]// 000000003AA4: D3F30008 1C220D66
	ds_read_b128 a[32:35], v2 offset:8320                      // 000000003AAC: DBFE2080 20000002
	ds_read_b128 a[36:39], v2 offset:8384                      // 000000003AB4: DBFE20C0 24000002
	v_mfma_f32_16x16x32_fp8_fp8 v[12:15], a[104:105], a[0:1], 0// 000000003ABC: D3F3000C 1A020168
	v_mfma_f32_16x16x32_fp8_fp8 v[12:15], a[106:107], a[2:3], v[12:15]// 000000003AC4: D3F3000C 1C32056A
	buffer_load_dwordx4 a[68:71], v54, s[84:87], 0 offen offset:1024// 000000003ACC: E05C1400 80954436
	v_mfma_f32_16x16x32_fp8_fp8 v[12:15], a[108:109], a[4:5], v[12:15]// 000000003AD4: D3F3000C 1C32096C
	v_mfma_f32_16x16x32_fp8_fp8 v[12:15], a[110:111], a[6:7], v[12:15]// 000000003ADC: D3F3000C 1C320D6E
	ds_read_b128 a[40:43], v2 offset:8832                      // 000000003AE4: DBFE2280 28000002
	ds_read_b128 a[44:47], v2 offset:8896                      // 000000003AEC: DBFE22C0 2C000002
	v_fma_f32 v124, v8, v4, v124                               // 000000003AF4: D1CB007C 05F20908
	v_fma_f32 v125, v9, v4, v125                               // 000000003AFC: D1CB007D 05F60909
	v_fma_f32 v126, v10, v4, v126                              // 000000003B04: D1CB007E 05FA090A
	v_fma_f32 v127, v11, v4, v127                              // 000000003B0C: D1CB007F 05FE090B
	v_mul_f32_dpp v6, v27, v34 row_newbcast:1 row_mask:0xf bank_mask:0xf// 000000003B14: 0A0C44FA FF01511B
	v_mfma_f32_16x16x32_fp8_fp8 v[8:11], a[112:113], a[0:1], 0 // 000000003B1C: D3F30008 1A020170
	v_mfma_f32_16x16x32_fp8_fp8 v[8:11], a[114:115], a[2:3], v[8:11]// 000000003B24: D3F30008 1C220572
	buffer_load_dwordx4 a[72:75], v55, s[84:87], 0 offen       // 000000003B2C: E05C1000 80954837
	v_mfma_f32_16x16x32_fp8_fp8 v[8:11], a[116:117], a[4:5], v[8:11]// 000000003B34: D3F30008 1C220974
	v_mfma_f32_16x16x32_fp8_fp8 v[8:11], a[118:119], a[6:7], v[8:11]// 000000003B3C: D3F30008 1C220D76
	ds_read_b128 a[48:51], v2 offset:9344                      // 000000003B44: DBFE2480 30000002
	ds_read_b128 a[52:55], v2 offset:9408                      // 000000003B4C: DBFE24C0 34000002
	v_fma_f32 v140, v12, v4, v140                              // 000000003B54: D1CB008C 0632090C
	v_fma_f32 v141, v13, v4, v141                              // 000000003B5C: D1CB008D 0636090D
	v_fma_f32 v142, v14, v4, v142                              // 000000003B64: D1CB008E 063A090E
	v_fma_f32 v143, v15, v4, v143                              // 000000003B6C: D1CB008F 063E090F
	v_mfma_f32_16x16x32_fp8_fp8 v[12:15], a[120:121], a[0:1], 0// 000000003B74: D3F3000C 1A020178
	v_mfma_f32_16x16x32_fp8_fp8 v[12:15], a[122:123], a[2:3], v[12:15]// 000000003B7C: D3F3000C 1C32057A
	buffer_load_dwordx4 a[76:79], v55, s[84:87], 0 offen offset:1024// 000000003B84: E05C1400 80954C37
	v_mfma_f32_16x16x32_fp8_fp8 v[12:15], a[124:125], a[4:5], v[12:15]// 000000003B8C: D3F3000C 1C32097C
	v_mfma_f32_16x16x32_fp8_fp8 v[12:15], a[126:127], a[6:7], v[12:15]// 000000003B94: D3F3000C 1C320D7E
	ds_read_b128 a[56:59], v2 offset:9856                      // 000000003B9C: DBFE2680 38000002
	ds_read_b128 a[60:63], v2 offset:9920                      // 000000003BA4: DBFE26C0 3C000002
	v_fma_f32 v156, v8, v6, v156                               // 000000003BAC: D1CB009C 06720D08
	v_fma_f32 v157, v9, v6, v157                               // 000000003BB4: D1CB009D 06760D09
	v_fma_f32 v158, v10, v6, v158                              // 000000003BBC: D1CB009E 067A0D0A
	v_fma_f32 v159, v11, v6, v159                              // 000000003BC4: D1CB009F 067E0D0B
	v_mul_f32_dpp v4, v27, v35 row_newbcast:0 row_mask:0xf bank_mask:0xf// 000000003BCC: 0A0846FA FF01501B
	v_mfma_f32_16x16x32_fp8_fp8 v[8:11], a[96:97], a[8:9], 0   // 000000003BD4: D3F30008 1A021160
	v_mfma_f32_16x16x32_fp8_fp8 v[8:11], a[98:99], a[10:11], v[8:11]// 000000003BDC: D3F30008 1C221562
	buffer_load_dwordx4 a[80:83], v56, s[84:87], 0 offen       // 000000003BE4: E05C1000 80955038
	v_mfma_f32_16x16x32_fp8_fp8 v[8:11], a[100:101], a[12:13], v[8:11]// 000000003BEC: D3F30008 1C221964
	v_mfma_f32_16x16x32_fp8_fp8 v[8:11], a[102:103], a[14:15], v[8:11]// 000000003BF4: D3F30008 1C221D66
	v_fma_f32 v172, v12, v6, v172                              // 000000003BFC: D1CB00AC 06B20D0C
	v_fma_f32 v173, v13, v6, v173                              // 000000003C04: D1CB00AD 06B60D0D
	v_fma_f32 v174, v14, v6, v174                              // 000000003C0C: D1CB00AE 06BA0D0E
	v_fma_f32 v175, v15, v6, v175                              // 000000003C14: D1CB00AF 06BE0D0F
	v_mfma_f32_16x16x32_fp8_fp8 v[12:15], a[104:105], a[8:9], 0// 000000003C1C: D3F3000C 1A021168
	v_mfma_f32_16x16x32_fp8_fp8 v[12:15], a[106:107], a[10:11], v[12:15]// 000000003C24: D3F3000C 1C32156A
	buffer_load_dwordx4 a[84:87], v56, s[84:87], 0 offen offset:1024// 000000003C2C: E05C1400 80955438
	v_mfma_f32_16x16x32_fp8_fp8 v[12:15], a[108:109], a[12:13], v[12:15]// 000000003C34: D3F3000C 1C32196C
	v_mfma_f32_16x16x32_fp8_fp8 v[12:15], a[110:111], a[14:15], v[12:15]// 000000003C3C: D3F3000C 1C321D6E
	v_fma_f32 v128, v8, v4, v128                               // 000000003C44: D1CB0080 06020908
	v_fma_f32 v129, v9, v4, v129                               // 000000003C4C: D1CB0081 06060909
	v_fma_f32 v130, v10, v4, v130                              // 000000003C54: D1CB0082 060A090A
	v_fma_f32 v131, v11, v4, v131                              // 000000003C5C: D1CB0083 060E090B
	v_mul_f32_dpp v6, v27, v35 row_newbcast:1 row_mask:0xf bank_mask:0xf// 000000003C64: 0A0C46FA FF01511B
	v_mfma_f32_16x16x32_fp8_fp8 v[8:11], a[112:113], a[8:9], 0 // 000000003C6C: D3F30008 1A021170
	v_mfma_f32_16x16x32_fp8_fp8 v[8:11], a[114:115], a[10:11], v[8:11]// 000000003C74: D3F30008 1C221572
	buffer_load_dwordx4 a[88:91], v57, s[84:87], 0 offen       // 000000003C7C: E05C1000 80955839
	v_mfma_f32_16x16x32_fp8_fp8 v[8:11], a[116:117], a[12:13], v[8:11]// 000000003C84: D3F30008 1C221974
	v_mfma_f32_16x16x32_fp8_fp8 v[8:11], a[118:119], a[14:15], v[8:11]// 000000003C8C: D3F30008 1C221D76
	v_fma_f32 v144, v12, v4, v144                              // 000000003C94: D1CB0090 0642090C
	v_fma_f32 v145, v13, v4, v145                              // 000000003C9C: D1CB0091 0646090D
	v_fma_f32 v146, v14, v4, v146                              // 000000003CA4: D1CB0092 064A090E
	v_fma_f32 v147, v15, v4, v147                              // 000000003CAC: D1CB0093 064E090F
	v_mfma_f32_16x16x32_fp8_fp8 v[12:15], a[120:121], a[8:9], 0// 000000003CB4: D3F3000C 1A021178
	v_mfma_f32_16x16x32_fp8_fp8 v[12:15], a[122:123], a[10:11], v[12:15]// 000000003CBC: D3F3000C 1C32157A
	buffer_load_dwordx4 a[92:95], v57, s[84:87], 0 offen offset:1024// 000000003CC4: E05C1400 80955C39
	v_mfma_f32_16x16x32_fp8_fp8 v[12:15], a[124:125], a[12:13], v[12:15]// 000000003CCC: D3F3000C 1C32197C
	v_mfma_f32_16x16x32_fp8_fp8 v[12:15], a[126:127], a[14:15], v[12:15]// 000000003CD4: D3F3000C 1C321D7E
	v_fma_f32 v160, v8, v6, v160                               // 000000003CDC: D1CB00A0 06820D08
	v_fma_f32 v161, v9, v6, v161                               // 000000003CE4: D1CB00A1 06860D09
	v_fma_f32 v162, v10, v6, v162                              // 000000003CEC: D1CB00A2 068A0D0A
	v_fma_f32 v163, v11, v6, v163                              // 000000003CF4: D1CB00A3 068E0D0B
	v_mul_f32_dpp v4, v27, v36 row_newbcast:0 row_mask:0xf bank_mask:0xf// 000000003CFC: 0A0848FA FF01501B
	v_mfma_f32_16x16x32_fp8_fp8 v[8:11], a[96:97], a[16:17], 0 // 000000003D04: D3F30008 1A022160
	v_mfma_f32_16x16x32_fp8_fp8 v[8:11], a[98:99], a[18:19], v[8:11]// 000000003D0C: D3F30008 1C222562
	v_mfma_f32_16x16x32_fp8_fp8 v[8:11], a[100:101], a[20:21], v[8:11]// 000000003D14: D3F30008 1C222964
	v_mfma_f32_16x16x32_fp8_fp8 v[8:11], a[102:103], a[22:23], v[8:11]// 000000003D1C: D3F30008 1C222D66
	v_fma_f32 v176, v12, v6, v176                              // 000000003D24: D1CB00B0 06C20D0C
	v_fma_f32 v177, v13, v6, v177                              // 000000003D2C: D1CB00B1 06C60D0D
	v_fma_f32 v178, v14, v6, v178                              // 000000003D34: D1CB00B2 06CA0D0E
	v_fma_f32 v179, v15, v6, v179                              // 000000003D3C: D1CB00B3 06CE0D0F
	v_mfma_f32_16x16x32_fp8_fp8 v[12:15], a[104:105], a[16:17], 0// 000000003D44: D3F3000C 1A022168
	v_mfma_f32_16x16x32_fp8_fp8 v[12:15], a[106:107], a[18:19], v[12:15]// 000000003D4C: D3F3000C 1C32256A
	v_mfma_f32_16x16x32_fp8_fp8 v[12:15], a[108:109], a[20:21], v[12:15]// 000000003D54: D3F3000C 1C32296C
	v_mfma_f32_16x16x32_fp8_fp8 v[12:15], a[110:111], a[22:23], v[12:15]// 000000003D5C: D3F3000C 1C322D6E
	v_fma_f32 v132, v8, v4, v132                               // 000000003D64: D1CB0084 06120908
	v_fma_f32 v133, v9, v4, v133                               // 000000003D6C: D1CB0085 06160909
	v_fma_f32 v134, v10, v4, v134                              // 000000003D74: D1CB0086 061A090A
	v_fma_f32 v135, v11, v4, v135                              // 000000003D7C: D1CB0087 061E090B
	v_mul_f32_dpp v6, v27, v36 row_newbcast:1 row_mask:0xf bank_mask:0xf// 000000003D84: 0A0C48FA FF01511B
	v_mfma_f32_16x16x32_fp8_fp8 v[8:11], a[112:113], a[16:17], 0// 000000003D8C: D3F30008 1A022170
	v_mfma_f32_16x16x32_fp8_fp8 v[8:11], a[114:115], a[18:19], v[8:11]// 000000003D94: D3F30008 1C222572
	v_mfma_f32_16x16x32_fp8_fp8 v[8:11], a[116:117], a[20:21], v[8:11]// 000000003D9C: D3F30008 1C222974
	v_mfma_f32_16x16x32_fp8_fp8 v[8:11], a[118:119], a[22:23], v[8:11]// 000000003DA4: D3F30008 1C222D76
	v_fma_f32 v148, v12, v4, v148                              // 000000003DAC: D1CB0094 0652090C
	v_fma_f32 v149, v13, v4, v149                              // 000000003DB4: D1CB0095 0656090D
	v_fma_f32 v150, v14, v4, v150                              // 000000003DBC: D1CB0096 065A090E
	v_fma_f32 v151, v15, v4, v151                              // 000000003DC4: D1CB0097 065E090F
	v_mfma_f32_16x16x32_fp8_fp8 v[12:15], a[120:121], a[16:17], 0// 000000003DCC: D3F3000C 1A022178
	v_mfma_f32_16x16x32_fp8_fp8 v[12:15], a[122:123], a[18:19], v[12:15]// 000000003DD4: D3F3000C 1C32257A
	v_mfma_f32_16x16x32_fp8_fp8 v[12:15], a[124:125], a[20:21], v[12:15]// 000000003DDC: D3F3000C 1C32297C
	v_mfma_f32_16x16x32_fp8_fp8 v[12:15], a[126:127], a[22:23], v[12:15]// 000000003DE4: D3F3000C 1C322D7E
	v_fma_f32 v164, v8, v6, v164                               // 000000003DEC: D1CB00A4 06920D08
	v_fma_f32 v165, v9, v6, v165                               // 000000003DF4: D1CB00A5 06960D09
	v_fma_f32 v166, v10, v6, v166                              // 000000003DFC: D1CB00A6 069A0D0A
	v_fma_f32 v167, v11, v6, v167                              // 000000003E04: D1CB00A7 069E0D0B
	v_mul_f32_dpp v4, v27, v37 row_newbcast:0 row_mask:0xf bank_mask:0xf// 000000003E0C: 0A084AFA FF01501B
	v_mfma_f32_16x16x32_fp8_fp8 v[8:11], a[96:97], a[24:25], 0 // 000000003E14: D3F30008 1A023160
	v_mfma_f32_16x16x32_fp8_fp8 v[8:11], a[98:99], a[26:27], v[8:11]// 000000003E1C: D3F30008 1C223562
	v_mfma_f32_16x16x32_fp8_fp8 v[8:11], a[100:101], a[28:29], v[8:11]// 000000003E24: D3F30008 1C223964
	v_mfma_f32_16x16x32_fp8_fp8 v[8:11], a[102:103], a[30:31], v[8:11]// 000000003E2C: D3F30008 1C223D66
	v_fma_f32 v180, v12, v6, v180                              // 000000003E34: D1CB00B4 06D20D0C
	v_fma_f32 v181, v13, v6, v181                              // 000000003E3C: D1CB00B5 06D60D0D
	v_fma_f32 v182, v14, v6, v182                              // 000000003E44: D1CB00B6 06DA0D0E
	v_fma_f32 v183, v15, v6, v183                              // 000000003E4C: D1CB00B7 06DE0D0F
	v_mfma_f32_16x16x32_fp8_fp8 v[12:15], a[104:105], a[24:25], 0// 000000003E54: D3F3000C 1A023168
	v_mfma_f32_16x16x32_fp8_fp8 v[12:15], a[106:107], a[26:27], v[12:15]// 000000003E5C: D3F3000C 1C32356A
	v_mfma_f32_16x16x32_fp8_fp8 v[12:15], a[108:109], a[28:29], v[12:15]// 000000003E64: D3F3000C 1C32396C
	v_mfma_f32_16x16x32_fp8_fp8 v[12:15], a[110:111], a[30:31], v[12:15]// 000000003E6C: D3F3000C 1C323D6E
	v_fma_f32 v136, v8, v4, v136                               // 000000003E74: D1CB0088 06220908
	v_fma_f32 v137, v9, v4, v137                               // 000000003E7C: D1CB0089 06260909
	v_fma_f32 v138, v10, v4, v138                              // 000000003E84: D1CB008A 062A090A
	v_fma_f32 v139, v11, v4, v139                              // 000000003E8C: D1CB008B 062E090B
	v_mul_f32_dpp v6, v27, v37 row_newbcast:1 row_mask:0xf bank_mask:0xf// 000000003E94: 0A0C4AFA FF01511B
	v_mfma_f32_16x16x32_fp8_fp8 v[8:11], a[112:113], a[24:25], 0// 000000003E9C: D3F30008 1A023170
	s_add_u32 s60, 0x180, s80                                  // 000000003EA4: 803C50FF 00000180
	s_cmp_lt_u32 s60, s81                                      // 000000003EAC: BF0A513C
	s_cselect_b32 s57, s57, 0                                  // 000000003EB0: 85398039
	s_cselect_b32 s3, s3, 0                                    // 000000003EB4: 85038003
	v_mfma_f32_16x16x32_fp8_fp8 v[8:11], a[114:115], a[26:27], v[8:11]// 000000003EB8: D3F30008 1C223572
	s_add_u32 s60, 0x100, s80                                  // 000000003EC0: 803C50FF 00000100
	s_cmp_lt_u32 s60, s81                                      // 000000003EC8: BF0A513C
	s_cselect_b32 s58, s58, 0                                  // 000000003ECC: 853A803A
	v_mfma_f32_16x16x32_fp8_fp8 v[8:11], a[116:117], a[28:29], v[8:11]// 000000003ED0: D3F30008 1C223974
	s_add_u32 s60, 0x100, s80                                  // 000000003ED8: 803C50FF 00000100
	s_cmp_lt_u32 s60, s81                                      // 000000003EE0: BF0A513C
	s_cselect_b32 s83, s83, 0                                  // 000000003EE4: 85538053
	s_cselect_b32 s4, s4, 0                                    // 000000003EE8: 85048004
	v_mfma_f32_16x16x32_fp8_fp8 v[8:11], a[118:119], a[30:31], v[8:11]// 000000003EEC: D3F30008 1C223D76
	s_add_u32 s24, s58, s24                                    // 000000003EF4: 8018183A
	s_addc_u32 s25, 0, s25                                     // 000000003EF8: 82191980
	v_fma_f32 v152, v12, v4, v152                              // 000000003EFC: D1CB0098 0662090C
	v_fma_f32 v153, v13, v4, v153                              // 000000003F04: D1CB0099 0666090D
	v_fma_f32 v154, v14, v4, v154                              // 000000003F0C: D1CB009A 066A090E
	v_fma_f32 v155, v15, v4, v155                              // 000000003F14: D1CB009B 066E090F
	v_mfma_f32_16x16x32_fp8_fp8 v[12:15], a[120:121], a[24:25], 0// 000000003F1C: D3F3000C 1A023178
	s_add_u32 s20, s57, s20                                    // 000000003F24: 80141439
	s_addc_u32 s21, 0, s21                                     // 000000003F28: 82151580
	s_add_u32 s28, s3, s28                                     // 000000003F2C: 801C1C03
	s_addc_u32 s29, 0, s29                                     // 000000003F30: 821D1D80
	v_mfma_f32_16x16x32_fp8_fp8 v[12:15], a[122:123], a[26:27], v[12:15]// 000000003F34: D3F3000C 1C32357A
	s_add_u32 s84, s83, s84                                    // 000000003F3C: 80545453
	s_addc_u32 s85, 0, s85                                     // 000000003F40: 82555580
	v_mfma_f32_16x16x32_fp8_fp8 v[12:15], a[124:125], a[28:29], v[12:15]// 000000003F44: D3F3000C 1C32397C
	s_add_u32 s32, s4, s32                                     // 000000003F4C: 80202004
	s_addc_u32 s33, 0, s33                                     // 000000003F50: 82212180
	v_mfma_f32_16x16x32_fp8_fp8 v[12:15], a[126:127], a[30:31], v[12:15]// 000000003F54: D3F3000C 1C323D7E
	v_fma_f32 v168, v8, v6, v168                               // 000000003F5C: D1CB00A8 06A20D08
	v_fma_f32 v169, v9, v6, v169                               // 000000003F64: D1CB00A9 06A60D09
	v_fma_f32 v170, v10, v6, v170                              // 000000003F6C: D1CB00AA 06AA0D0A
	v_fma_f32 v171, v11, v6, v171                              // 000000003F74: D1CB00AB 06AE0D0B
	v_fma_f32 v184, v12, v6, v184                              // 000000003F7C: D1CB00B8 06E20D0C
	v_fma_f32 v185, v13, v6, v185                              // 000000003F84: D1CB00B9 06E60D0D
	v_fma_f32 v186, v14, v6, v186                              // 000000003F8C: D1CB00BA 06EA0D0E
	v_fma_f32 v187, v15, v6, v187                              // 000000003F94: D1CB00BB 06EE0D0F
	s_addk_i32 s80, 0x80                                       // 000000003F9C: B7500080
	s_cmp_lt_i32 s80, s81                                      // 000000003FA0: BF045150
	s_cbranch_scc0 label_1268                                  // 000000003FA4: BF840CFE
	s_waitcnt vmcnt(21) lgkmcnt(0)                             // 000000003FA8: BF8C4075
	v_mul_f32_dpp v4, v25, v38 row_newbcast:0 row_mask:0xf bank_mask:0xf// 000000003FAC: 0A084CFA FF015019
	v_mfma_f32_16x16x32_fp8_fp8 v[8:11], a[128:129], a[32:33], 0// 000000003FB4: D3F30008 1A024180
	buffer_load_dword v26, v22, s[32:35], 0 offen              // 000000003FBC: E0501000 80081A16
	v_mfma_f32_16x16x32_fp8_fp8 v[8:11], a[130:131], a[34:35], v[8:11]// 000000003FC4: D3F30008 1C224582
	buffer_load_dwordx4 a[96:99], v54, s[24:27], 0 offen       // 000000003FCC: E05C1000 80866036
	v_mfma_f32_16x16x32_fp8_fp8 v[8:11], a[132:133], a[36:37], v[8:11]// 000000003FD4: D3F30008 1C224984
	v_mfma_f32_16x16x32_fp8_fp8 v[8:11], a[134:135], a[38:39], v[8:11]// 000000003FDC: D3F30008 1C224D86
	v_mfma_f32_16x16x32_fp8_fp8 v[12:15], a[136:137], a[32:33], 0// 000000003FE4: D3F3000C 1A024188
	v_mfma_f32_16x16x32_fp8_fp8 v[12:15], a[138:139], a[34:35], v[12:15]// 000000003FEC: D3F3000C 1C32458A
	buffer_load_dwordx4 a[100:103], v54, s[24:27], 0 offen offset:1024// 000000003FF4: E05C1400 80866436
	v_mfma_f32_16x16x32_fp8_fp8 v[12:15], a[140:141], a[36:37], v[12:15]// 000000003FFC: D3F3000C 1C32498C
	v_mfma_f32_16x16x32_fp8_fp8 v[12:15], a[142:143], a[38:39], v[12:15]// 000000004004: D3F3000C 1C324D8E
	v_fma_f32 v60, v8, v4, v60                                 // 00000000400C: D1CB003C 04F20908
	v_fma_f32 v61, v9, v4, v61                                 // 000000004014: D1CB003D 04F60909
	v_fma_f32 v62, v10, v4, v62                                // 00000000401C: D1CB003E 04FA090A
	v_fma_f32 v63, v11, v4, v63                                // 000000004024: D1CB003F 04FE090B
	v_mul_f32_dpp v6, v25, v38 row_newbcast:1 row_mask:0xf bank_mask:0xf// 00000000402C: 0A0C4CFA FF015119
	v_mfma_f32_16x16x32_fp8_fp8 v[8:11], a[144:145], a[32:33], 0// 000000004034: D3F30008 1A024190
	v_mfma_f32_16x16x32_fp8_fp8 v[8:11], a[146:147], a[34:35], v[8:11]// 00000000403C: D3F30008 1C224592
	buffer_load_dwordx4 a[104:107], v55, s[24:27], 0 offen     // 000000004044: E05C1000 80866837
	v_mfma_f32_16x16x32_fp8_fp8 v[8:11], a[148:149], a[36:37], v[8:11]// 00000000404C: D3F30008 1C224994
	v_mfma_f32_16x16x32_fp8_fp8 v[8:11], a[150:151], a[38:39], v[8:11]// 000000004054: D3F30008 1C224D96
	v_fma_f32 v76, v12, v4, v76                                // 00000000405C: D1CB004C 0532090C
	v_fma_f32 v77, v13, v4, v77                                // 000000004064: D1CB004D 0536090D
	v_fma_f32 v78, v14, v4, v78                                // 00000000406C: D1CB004E 053A090E
	v_fma_f32 v79, v15, v4, v79                                // 000000004074: D1CB004F 053E090F
	v_mfma_f32_16x16x32_fp8_fp8 v[12:15], a[152:153], a[32:33], 0// 00000000407C: D3F3000C 1A024198
	v_mfma_f32_16x16x32_fp8_fp8 v[12:15], a[154:155], a[34:35], v[12:15]// 000000004084: D3F3000C 1C32459A
	buffer_load_dwordx4 a[108:111], v55, s[24:27], 0 offen offset:1024// 00000000408C: E05C1400 80866C37
	v_mfma_f32_16x16x32_fp8_fp8 v[12:15], a[156:157], a[36:37], v[12:15]// 000000004094: D3F3000C 1C32499C
	v_mfma_f32_16x16x32_fp8_fp8 v[12:15], a[158:159], a[38:39], v[12:15]// 00000000409C: D3F3000C 1C324D9E
	v_fma_f32 v92, v8, v6, v92                                 // 0000000040A4: D1CB005C 05720D08
	v_fma_f32 v93, v9, v6, v93                                 // 0000000040AC: D1CB005D 05760D09
	v_fma_f32 v94, v10, v6, v94                                // 0000000040B4: D1CB005E 057A0D0A
	v_fma_f32 v95, v11, v6, v95                                // 0000000040BC: D1CB005F 057E0D0B
	v_mul_f32_dpp v4, v25, v39 row_newbcast:0 row_mask:0xf bank_mask:0xf// 0000000040C4: 0A084EFA FF015019
	v_mfma_f32_16x16x32_fp8_fp8 v[8:11], a[128:129], a[40:41], 0// 0000000040CC: D3F30008 1A025180
	v_mfma_f32_16x16x32_fp8_fp8 v[8:11], a[130:131], a[42:43], v[8:11]// 0000000040D4: D3F30008 1C225582
	buffer_load_dwordx4 a[112:115], v56, s[24:27], 0 offen     // 0000000040DC: E05C1000 80867038
	v_mfma_f32_16x16x32_fp8_fp8 v[8:11], a[132:133], a[44:45], v[8:11]// 0000000040E4: D3F30008 1C225984
	v_mfma_f32_16x16x32_fp8_fp8 v[8:11], a[134:135], a[46:47], v[8:11]// 0000000040EC: D3F30008 1C225D86
	v_fma_f32 v108, v12, v6, v108                              // 0000000040F4: D1CB006C 05B20D0C
	v_fma_f32 v109, v13, v6, v109                              // 0000000040FC: D1CB006D 05B60D0D
	v_fma_f32 v110, v14, v6, v110                              // 000000004104: D1CB006E 05BA0D0E
	v_fma_f32 v111, v15, v6, v111                              // 00000000410C: D1CB006F 05BE0D0F
	v_mfma_f32_16x16x32_fp8_fp8 v[12:15], a[136:137], a[40:41], 0// 000000004114: D3F3000C 1A025188
	v_mfma_f32_16x16x32_fp8_fp8 v[12:15], a[138:139], a[42:43], v[12:15]// 00000000411C: D3F3000C 1C32558A
	buffer_load_dwordx4 a[116:119], v56, s[24:27], 0 offen offset:1024// 000000004124: E05C1400 80867438
	v_mfma_f32_16x16x32_fp8_fp8 v[12:15], a[140:141], a[44:45], v[12:15]// 00000000412C: D3F3000C 1C32598C
	v_mfma_f32_16x16x32_fp8_fp8 v[12:15], a[142:143], a[46:47], v[12:15]// 000000004134: D3F3000C 1C325D8E
	v_fma_f32 v64, v8, v4, v64                                 // 00000000413C: D1CB0040 05020908
	v_fma_f32 v65, v9, v4, v65                                 // 000000004144: D1CB0041 05060909
	v_fma_f32 v66, v10, v4, v66                                // 00000000414C: D1CB0042 050A090A
	v_fma_f32 v67, v11, v4, v67                                // 000000004154: D1CB0043 050E090B
	v_mul_f32_dpp v6, v25, v39 row_newbcast:1 row_mask:0xf bank_mask:0xf// 00000000415C: 0A0C4EFA FF015119
	v_mfma_f32_16x16x32_fp8_fp8 v[8:11], a[144:145], a[40:41], 0// 000000004164: D3F30008 1A025190
	v_mfma_f32_16x16x32_fp8_fp8 v[8:11], a[146:147], a[42:43], v[8:11]// 00000000416C: D3F30008 1C225592
	buffer_load_dwordx4 a[120:123], v57, s[24:27], 0 offen     // 000000004174: E05C1000 80867839
	v_mfma_f32_16x16x32_fp8_fp8 v[8:11], a[148:149], a[44:45], v[8:11]// 00000000417C: D3F30008 1C225994
	v_mfma_f32_16x16x32_fp8_fp8 v[8:11], a[150:151], a[46:47], v[8:11]// 000000004184: D3F30008 1C225D96
	v_fma_f32 v80, v12, v4, v80                                // 00000000418C: D1CB0050 0542090C
	v_fma_f32 v81, v13, v4, v81                                // 000000004194: D1CB0051 0546090D
	v_fma_f32 v82, v14, v4, v82                                // 00000000419C: D1CB0052 054A090E
	v_fma_f32 v83, v15, v4, v83                                // 0000000041A4: D1CB0053 054E090F
	v_mfma_f32_16x16x32_fp8_fp8 v[12:15], a[152:153], a[40:41], 0// 0000000041AC: D3F3000C 1A025198
	v_mfma_f32_16x16x32_fp8_fp8 v[12:15], a[154:155], a[42:43], v[12:15]// 0000000041B4: D3F3000C 1C32559A
	buffer_load_dwordx4 a[124:127], v57, s[24:27], 0 offen offset:1024// 0000000041BC: E05C1400 80867C39
	buffer_load_dword v46, s[20:23], 0 offen lds               // 0000000041C4: E0511000 8005002E
	s_add_u32 m0, 0x100, s48                                   // 0000000041CC: 807C30FF 00000100
	v_mfma_f32_16x16x32_fp8_fp8 v[12:15], a[156:157], a[44:45], v[12:15]// 0000000041D4: D3F3000C 1C32599C
	v_mfma_f32_16x16x32_fp8_fp8 v[12:15], a[158:159], a[46:47], v[12:15]// 0000000041DC: D3F3000C 1C325D9E
	buffer_load_dword v47, s[20:23], 0 offen lds               // 0000000041E4: E0511000 8005002F
	s_add_u32 m0, 0x200, s48                                   // 0000000041EC: 807C30FF 00000200
	v_fma_f32 v96, v8, v6, v96                                 // 0000000041F4: D1CB0060 05820D08
	v_fma_f32 v97, v9, v6, v97                                 // 0000000041FC: D1CB0061 05860D09
	v_fma_f32 v98, v10, v6, v98                                // 000000004204: D1CB0062 058A0D0A
	v_fma_f32 v99, v11, v6, v99                                // 00000000420C: D1CB0063 058E0D0B
	v_mul_f32_dpp v4, v25, v40 row_newbcast:0 row_mask:0xf bank_mask:0xf// 000000004214: 0A0850FA FF015019
	v_mfma_f32_16x16x32_fp8_fp8 v[8:11], a[128:129], a[48:49], 0// 00000000421C: D3F30008 1A026180
	v_mfma_f32_16x16x32_fp8_fp8 v[8:11], a[130:131], a[50:51], v[8:11]// 000000004224: D3F30008 1C226582
	buffer_load_dword v48, s[20:23], 0 offen lds               // 00000000422C: E0511000 80050030
	s_add_u32 m0, 0x300, s48                                   // 000000004234: 807C30FF 00000300
	v_mfma_f32_16x16x32_fp8_fp8 v[8:11], a[132:133], a[52:53], v[8:11]// 00000000423C: D3F30008 1C226984
	v_mfma_f32_16x16x32_fp8_fp8 v[8:11], a[134:135], a[54:55], v[8:11]// 000000004244: D3F30008 1C226D86
	buffer_load_dword v49, s[20:23], 0 offen lds               // 00000000424C: E0511000 80050031
	s_add_u32 m0, 0x400, s48                                   // 000000004254: 807C30FF 00000400
	v_fma_f32 v112, v12, v6, v112                              // 00000000425C: D1CB0070 05C20D0C
	v_fma_f32 v113, v13, v6, v113                              // 000000004264: D1CB0071 05C60D0D
	v_fma_f32 v114, v14, v6, v114                              // 00000000426C: D1CB0072 05CA0D0E
	v_fma_f32 v115, v15, v6, v115                              // 000000004274: D1CB0073 05CE0D0F
	v_mfma_f32_16x16x32_fp8_fp8 v[12:15], a[136:137], a[48:49], 0// 00000000427C: D3F3000C 1A026188
	v_mfma_f32_16x16x32_fp8_fp8 v[12:15], a[138:139], a[50:51], v[12:15]// 000000004284: D3F3000C 1C32658A
	buffer_load_dword v50, s[20:23], 0 offen lds               // 00000000428C: E0511000 80050032
	s_add_u32 m0, 0x500, s48                                   // 000000004294: 807C30FF 00000500
	v_mfma_f32_16x16x32_fp8_fp8 v[12:15], a[140:141], a[52:53], v[12:15]// 00000000429C: D3F3000C 1C32698C
	v_mfma_f32_16x16x32_fp8_fp8 v[12:15], a[142:143], a[54:55], v[12:15]// 0000000042A4: D3F3000C 1C326D8E
	buffer_load_dword v51, s[20:23], 0 offen lds               // 0000000042AC: E0511000 80050033
	s_add_u32 m0, 0x600, s48                                   // 0000000042B4: 807C30FF 00000600
	v_fma_f32 v68, v8, v4, v68                                 // 0000000042BC: D1CB0044 05120908
	v_fma_f32 v69, v9, v4, v69                                 // 0000000042C4: D1CB0045 05160909
	v_fma_f32 v70, v10, v4, v70                                // 0000000042CC: D1CB0046 051A090A
	v_fma_f32 v71, v11, v4, v71                                // 0000000042D4: D1CB0047 051E090B
	v_mul_f32_dpp v6, v25, v40 row_newbcast:1 row_mask:0xf bank_mask:0xf// 0000000042DC: 0A0C50FA FF015119
	v_mfma_f32_16x16x32_fp8_fp8 v[8:11], a[144:145], a[48:49], 0// 0000000042E4: D3F30008 1A026190
	v_mfma_f32_16x16x32_fp8_fp8 v[8:11], a[146:147], a[50:51], v[8:11]// 0000000042EC: D3F30008 1C226592
	buffer_load_dword v52, s[20:23], 0 offen lds               // 0000000042F4: E0511000 80050034
	s_add_u32 m0, 0x700, s48                                   // 0000000042FC: 807C30FF 00000700
	v_mfma_f32_16x16x32_fp8_fp8 v[8:11], a[148:149], a[52:53], v[8:11]// 000000004304: D3F30008 1C226994
	v_mfma_f32_16x16x32_fp8_fp8 v[8:11], a[150:151], a[54:55], v[8:11]// 00000000430C: D3F30008 1C226D96
	buffer_load_dword v53, s[20:23], 0 offen lds               // 000000004314: E0511000 80050035
	s_add_u32 m0, 0, s49                                       // 00000000431C: 807C3180
	v_fma_f32 v84, v12, v4, v84                                // 000000004320: D1CB0054 0552090C
	v_fma_f32 v85, v13, v4, v85                                // 000000004328: D1CB0055 0556090D
	v_fma_f32 v86, v14, v4, v86                                // 000000004330: D1CB0056 055A090E
	v_fma_f32 v87, v15, v4, v87                                // 000000004338: D1CB0057 055E090F
	v_mfma_f32_16x16x32_fp8_fp8 v[12:15], a[152:153], a[48:49], 0// 000000004340: D3F3000C 1A026198
	v_mfma_f32_16x16x32_fp8_fp8 v[12:15], a[154:155], a[50:51], v[12:15]// 000000004348: D3F3000C 1C32659A
	buffer_load_dword v34, v30, s[28:31], 0 offen              // 000000004350: E0501000 8007221E
	v_mfma_f32_16x16x32_fp8_fp8 v[12:15], a[156:157], a[52:53], v[12:15]// 000000004358: D3F3000C 1C32699C
	v_mfma_f32_16x16x32_fp8_fp8 v[12:15], a[158:159], a[54:55], v[12:15]// 000000004360: D3F3000C 1C326D9E
	buffer_load_dword v35, v31, s[28:31], 0 offen              // 000000004368: E0501000 8007231F
	v_fma_f32 v100, v8, v6, v100                               // 000000004370: D1CB0064 05920D08
	v_fma_f32 v101, v9, v6, v101                               // 000000004378: D1CB0065 05960D09
	v_fma_f32 v102, v10, v6, v102                              // 000000004380: D1CB0066 059A0D0A
	v_fma_f32 v103, v11, v6, v103                              // 000000004388: D1CB0067 059E0D0B
	v_mul_f32_dpp v4, v25, v41 row_newbcast:0 row_mask:0xf bank_mask:0xf// 000000004390: 0A0852FA FF015019
	v_mfma_f32_16x16x32_fp8_fp8 v[8:11], a[128:129], a[56:57], 0// 000000004398: D3F30008 1A027180
	v_mfma_f32_16x16x32_fp8_fp8 v[8:11], a[130:131], a[58:59], v[8:11]// 0000000043A0: D3F30008 1C227582
	buffer_load_dword v36, v32, s[28:31], 0 offen              // 0000000043A8: E0501000 80072420
	v_mfma_f32_16x16x32_fp8_fp8 v[8:11], a[132:133], a[60:61], v[8:11]// 0000000043B0: D3F30008 1C227984
	v_mfma_f32_16x16x32_fp8_fp8 v[8:11], a[134:135], a[62:63], v[8:11]// 0000000043B8: D3F30008 1C227D86
	buffer_load_dword v37, v33, s[28:31], 0 offen              // 0000000043C0: E0501000 80072521
	v_fma_f32 v116, v12, v6, v116                              // 0000000043C8: D1CB0074 05D20D0C
	v_fma_f32 v117, v13, v6, v117                              // 0000000043D0: D1CB0075 05D60D0D
	v_fma_f32 v118, v14, v6, v118                              // 0000000043D8: D1CB0076 05DA0D0E
	v_fma_f32 v119, v15, v6, v119                              // 0000000043E0: D1CB0077 05DE0D0F
	v_mfma_f32_16x16x32_fp8_fp8 v[12:15], a[136:137], a[56:57], 0// 0000000043E8: D3F3000C 1A027188
	v_mfma_f32_16x16x32_fp8_fp8 v[12:15], a[138:139], a[58:59], v[12:15]// 0000000043F0: D3F3000C 1C32758A
	v_mfma_f32_16x16x32_fp8_fp8 v[12:15], a[140:141], a[60:61], v[12:15]// 0000000043F8: D3F3000C 1C32798C
	v_mfma_f32_16x16x32_fp8_fp8 v[12:15], a[142:143], a[62:63], v[12:15]// 000000004400: D3F3000C 1C327D8E
	v_fma_f32 v72, v8, v4, v72                                 // 000000004408: D1CB0048 05220908
	v_fma_f32 v73, v9, v4, v73                                 // 000000004410: D1CB0049 05260909
	v_fma_f32 v74, v10, v4, v74                                // 000000004418: D1CB004A 052A090A
	v_fma_f32 v75, v11, v4, v75                                // 000000004420: D1CB004B 052E090B
	v_mul_f32_dpp v6, v25, v41 row_newbcast:1 row_mask:0xf bank_mask:0xf// 000000004428: 0A0C52FA FF015119
	v_mfma_f32_16x16x32_fp8_fp8 v[8:11], a[144:145], a[56:57], 0// 000000004430: D3F30008 1A027190
	v_mfma_f32_16x16x32_fp8_fp8 v[8:11], a[146:147], a[58:59], v[8:11]// 000000004438: D3F30008 1C227592
	v_mfma_f32_16x16x32_fp8_fp8 v[8:11], a[148:149], a[60:61], v[8:11]// 000000004440: D3F30008 1C227994
	v_mfma_f32_16x16x32_fp8_fp8 v[8:11], a[150:151], a[62:63], v[8:11]// 000000004448: D3F30008 1C227D96
	v_fma_f32 v88, v12, v4, v88                                // 000000004450: D1CB0058 0562090C
	v_fma_f32 v89, v13, v4, v89                                // 000000004458: D1CB0059 0566090D
	v_fma_f32 v90, v14, v4, v90                                // 000000004460: D1CB005A 056A090E
	v_fma_f32 v91, v15, v4, v91                                // 000000004468: D1CB005B 056E090F
	v_mfma_f32_16x16x32_fp8_fp8 v[12:15], a[152:153], a[56:57], 0// 000000004470: D3F3000C 1A027198
	v_mfma_f32_16x16x32_fp8_fp8 v[12:15], a[154:155], a[58:59], v[12:15]// 000000004478: D3F3000C 1C32759A
	v_mfma_f32_16x16x32_fp8_fp8 v[12:15], a[156:157], a[60:61], v[12:15]// 000000004480: D3F3000C 1C32799C
	v_mfma_f32_16x16x32_fp8_fp8 v[12:15], a[158:159], a[62:63], v[12:15]// 000000004488: D3F3000C 1C327D9E
	v_fma_f32 v104, v8, v6, v104                               // 000000004490: D1CB0068 05A20D08
	v_fma_f32 v105, v9, v6, v105                               // 000000004498: D1CB0069 05A60D09
	v_fma_f32 v106, v10, v6, v106                              // 0000000044A0: D1CB006A 05AA0D0A
	v_fma_f32 v107, v11, v6, v107                              // 0000000044A8: D1CB006B 05AE0D0B
	v_fma_f32 v120, v12, v6, v120                              // 0000000044B0: D1CB0078 05E20D0C
	v_fma_f32 v121, v13, v6, v121                              // 0000000044B8: D1CB0079 05E60D0D
	v_fma_f32 v122, v14, v6, v122                              // 0000000044C0: D1CB007A 05EA0D0E
	v_fma_f32 v123, v15, v6, v123                              // 0000000044C8: D1CB007B 05EE0D0F
	s_waitcnt vmcnt(21)                                        // 0000000044D0: BF8C4F75
	s_barrier                                                  // 0000000044D4: BF8A0000
	v_mul_f32_dpp v4, v28, v38 row_newbcast:0 row_mask:0xf bank_mask:0xf// 0000000044D8: 0A084CFA FF01501C
	v_mfma_f32_16x16x32_fp8_fp8 v[8:11], a[64:65], a[32:33], 0 // 0000000044E0: D3F30008 1A024140
	buffer_load_dword v29, v23, s[32:35], 0 offen              // 0000000044E8: E0501000 80081D17
	v_mfma_f32_16x16x32_fp8_fp8 v[8:11], a[66:67], a[34:35], v[8:11]// 0000000044F0: D3F30008 1C224542
	buffer_load_dwordx4 a[128:131], v54, s[84:87], 0 offen     // 0000000044F8: E05C1000 80958036
	v_mfma_f32_16x16x32_fp8_fp8 v[8:11], a[68:69], a[36:37], v[8:11]// 000000004500: D3F30008 1C224944
	v_mfma_f32_16x16x32_fp8_fp8 v[8:11], a[70:71], a[38:39], v[8:11]// 000000004508: D3F30008 1C224D46
	ds_read_b128 a[0:3], v2 offset:16640                       // 000000004510: DBFE4100 00000002
	ds_read_b128 a[4:7], v2 offset:16704                       // 000000004518: DBFE4140 04000002
	v_mfma_f32_16x16x32_fp8_fp8 v[12:15], a[72:73], a[32:33], 0// 000000004520: D3F3000C 1A024148
	v_mfma_f32_16x16x32_fp8_fp8 v[12:15], a[74:75], a[34:35], v[12:15]// 000000004528: D3F3000C 1C32454A
	buffer_load_dwordx4 a[132:135], v54, s[84:87], 0 offen offset:1024// 000000004530: E05C1400 80958436
	v_mfma_f32_16x16x32_fp8_fp8 v[12:15], a[76:77], a[36:37], v[12:15]// 000000004538: D3F3000C 1C32494C
	v_mfma_f32_16x16x32_fp8_fp8 v[12:15], a[78:79], a[38:39], v[12:15]// 000000004540: D3F3000C 1C324D4E
	ds_read_b128 a[8:11], v2 offset:17152                      // 000000004548: DBFE4300 08000002
	ds_read_b128 a[12:15], v2 offset:17216                     // 000000004550: DBFE4340 0C000002
	v_fma_f32 v124, v8, v4, v124                               // 000000004558: D1CB007C 05F20908
	v_fma_f32 v125, v9, v4, v125                               // 000000004560: D1CB007D 05F60909
	v_fma_f32 v126, v10, v4, v126                              // 000000004568: D1CB007E 05FA090A
	v_fma_f32 v127, v11, v4, v127                              // 000000004570: D1CB007F 05FE090B
	v_mul_f32_dpp v6, v28, v38 row_newbcast:1 row_mask:0xf bank_mask:0xf// 000000004578: 0A0C4CFA FF01511C
	v_mfma_f32_16x16x32_fp8_fp8 v[8:11], a[80:81], a[32:33], 0 // 000000004580: D3F30008 1A024150
	v_mfma_f32_16x16x32_fp8_fp8 v[8:11], a[82:83], a[34:35], v[8:11]// 000000004588: D3F30008 1C224552
	buffer_load_dwordx4 a[136:139], v55, s[84:87], 0 offen     // 000000004590: E05C1000 80958837
	v_mfma_f32_16x16x32_fp8_fp8 v[8:11], a[84:85], a[36:37], v[8:11]// 000000004598: D3F30008 1C224954
	v_mfma_f32_16x16x32_fp8_fp8 v[8:11], a[86:87], a[38:39], v[8:11]// 0000000045A0: D3F30008 1C224D56
	ds_read_b128 a[16:19], v2 offset:17664                     // 0000000045A8: DBFE4500 10000002
	ds_read_b128 a[20:23], v2 offset:17728                     // 0000000045B0: DBFE4540 14000002
	v_fma_f32 v140, v12, v4, v140                              // 0000000045B8: D1CB008C 0632090C
	v_fma_f32 v141, v13, v4, v141                              // 0000000045C0: D1CB008D 0636090D
	v_fma_f32 v142, v14, v4, v142                              // 0000000045C8: D1CB008E 063A090E
	v_fma_f32 v143, v15, v4, v143                              // 0000000045D0: D1CB008F 063E090F
	v_mfma_f32_16x16x32_fp8_fp8 v[12:15], a[88:89], a[32:33], 0// 0000000045D8: D3F3000C 1A024158
	v_mfma_f32_16x16x32_fp8_fp8 v[12:15], a[90:91], a[34:35], v[12:15]// 0000000045E0: D3F3000C 1C32455A
	buffer_load_dwordx4 a[140:143], v55, s[84:87], 0 offen offset:1024// 0000000045E8: E05C1400 80958C37
	v_mfma_f32_16x16x32_fp8_fp8 v[12:15], a[92:93], a[36:37], v[12:15]// 0000000045F0: D3F3000C 1C32495C
	v_mfma_f32_16x16x32_fp8_fp8 v[12:15], a[94:95], a[38:39], v[12:15]// 0000000045F8: D3F3000C 1C324D5E
	ds_read_b128 a[24:27], v2 offset:18176                     // 000000004600: DBFE4700 18000002
	ds_read_b128 a[28:31], v2 offset:18240                     // 000000004608: DBFE4740 1C000002
	v_fma_f32 v156, v8, v6, v156                               // 000000004610: D1CB009C 06720D08
	v_fma_f32 v157, v9, v6, v157                               // 000000004618: D1CB009D 06760D09
	v_fma_f32 v158, v10, v6, v158                              // 000000004620: D1CB009E 067A0D0A
	v_fma_f32 v159, v11, v6, v159                              // 000000004628: D1CB009F 067E0D0B
	v_mul_f32_dpp v4, v28, v39 row_newbcast:0 row_mask:0xf bank_mask:0xf// 000000004630: 0A084EFA FF01501C
	v_mfma_f32_16x16x32_fp8_fp8 v[8:11], a[64:65], a[40:41], 0 // 000000004638: D3F30008 1A025140
	v_mfma_f32_16x16x32_fp8_fp8 v[8:11], a[66:67], a[42:43], v[8:11]// 000000004640: D3F30008 1C225542
	buffer_load_dwordx4 a[144:147], v56, s[84:87], 0 offen     // 000000004648: E05C1000 80959038
	v_mfma_f32_16x16x32_fp8_fp8 v[8:11], a[68:69], a[44:45], v[8:11]// 000000004650: D3F30008 1C225944
	v_mfma_f32_16x16x32_fp8_fp8 v[8:11], a[70:71], a[46:47], v[8:11]// 000000004658: D3F30008 1C225D46
	v_fma_f32 v172, v12, v6, v172                              // 000000004660: D1CB00AC 06B20D0C
	v_fma_f32 v173, v13, v6, v173                              // 000000004668: D1CB00AD 06B60D0D
	v_fma_f32 v174, v14, v6, v174                              // 000000004670: D1CB00AE 06BA0D0E
	v_fma_f32 v175, v15, v6, v175                              // 000000004678: D1CB00AF 06BE0D0F
	v_mfma_f32_16x16x32_fp8_fp8 v[12:15], a[72:73], a[40:41], 0// 000000004680: D3F3000C 1A025148
	v_mfma_f32_16x16x32_fp8_fp8 v[12:15], a[74:75], a[42:43], v[12:15]// 000000004688: D3F3000C 1C32554A
	buffer_load_dwordx4 a[148:151], v56, s[84:87], 0 offen offset:1024// 000000004690: E05C1400 80959438
	v_mfma_f32_16x16x32_fp8_fp8 v[12:15], a[76:77], a[44:45], v[12:15]// 000000004698: D3F3000C 1C32594C
	v_mfma_f32_16x16x32_fp8_fp8 v[12:15], a[78:79], a[46:47], v[12:15]// 0000000046A0: D3F3000C 1C325D4E
	v_fma_f32 v128, v8, v4, v128                               // 0000000046A8: D1CB0080 06020908
	v_fma_f32 v129, v9, v4, v129                               // 0000000046B0: D1CB0081 06060909
	v_fma_f32 v130, v10, v4, v130                              // 0000000046B8: D1CB0082 060A090A
	v_fma_f32 v131, v11, v4, v131                              // 0000000046C0: D1CB0083 060E090B
	v_mul_f32_dpp v6, v28, v39 row_newbcast:1 row_mask:0xf bank_mask:0xf// 0000000046C8: 0A0C4EFA FF01511C
	v_mfma_f32_16x16x32_fp8_fp8 v[8:11], a[80:81], a[40:41], 0 // 0000000046D0: D3F30008 1A025150
	v_mfma_f32_16x16x32_fp8_fp8 v[8:11], a[82:83], a[42:43], v[8:11]// 0000000046D8: D3F30008 1C225552
	buffer_load_dwordx4 a[152:155], v57, s[84:87], 0 offen     // 0000000046E0: E05C1000 80959839
	v_mfma_f32_16x16x32_fp8_fp8 v[8:11], a[84:85], a[44:45], v[8:11]// 0000000046E8: D3F30008 1C225954
	v_mfma_f32_16x16x32_fp8_fp8 v[8:11], a[86:87], a[46:47], v[8:11]// 0000000046F0: D3F30008 1C225D56
	v_fma_f32 v144, v12, v4, v144                              // 0000000046F8: D1CB0090 0642090C
	v_fma_f32 v145, v13, v4, v145                              // 000000004700: D1CB0091 0646090D
	v_fma_f32 v146, v14, v4, v146                              // 000000004708: D1CB0092 064A090E
	v_fma_f32 v147, v15, v4, v147                              // 000000004710: D1CB0093 064E090F
	v_mfma_f32_16x16x32_fp8_fp8 v[12:15], a[88:89], a[40:41], 0// 000000004718: D3F3000C 1A025158
	v_mfma_f32_16x16x32_fp8_fp8 v[12:15], a[90:91], a[42:43], v[12:15]// 000000004720: D3F3000C 1C32555A
	buffer_load_dwordx4 a[156:159], v57, s[84:87], 0 offen offset:1024// 000000004728: E05C1400 80959C39
	v_mfma_f32_16x16x32_fp8_fp8 v[12:15], a[92:93], a[44:45], v[12:15]// 000000004730: D3F3000C 1C32595C
	v_mfma_f32_16x16x32_fp8_fp8 v[12:15], a[94:95], a[46:47], v[12:15]// 000000004738: D3F3000C 1C325D5E
	v_fma_f32 v160, v8, v6, v160                               // 000000004740: D1CB00A0 06820D08
	v_fma_f32 v161, v9, v6, v161                               // 000000004748: D1CB00A1 06860D09
	v_fma_f32 v162, v10, v6, v162                              // 000000004750: D1CB00A2 068A0D0A
	v_fma_f32 v163, v11, v6, v163                              // 000000004758: D1CB00A3 068E0D0B
	v_mul_f32_dpp v4, v28, v40 row_newbcast:0 row_mask:0xf bank_mask:0xf// 000000004760: 0A0850FA FF01501C
	v_mfma_f32_16x16x32_fp8_fp8 v[8:11], a[64:65], a[48:49], 0 // 000000004768: D3F30008 1A026140
	v_mfma_f32_16x16x32_fp8_fp8 v[8:11], a[66:67], a[50:51], v[8:11]// 000000004770: D3F30008 1C226542
	v_mfma_f32_16x16x32_fp8_fp8 v[8:11], a[68:69], a[52:53], v[8:11]// 000000004778: D3F30008 1C226944
	v_mfma_f32_16x16x32_fp8_fp8 v[8:11], a[70:71], a[54:55], v[8:11]// 000000004780: D3F30008 1C226D46
	v_fma_f32 v176, v12, v6, v176                              // 000000004788: D1CB00B0 06C20D0C
	v_fma_f32 v177, v13, v6, v177                              // 000000004790: D1CB00B1 06C60D0D
	v_fma_f32 v178, v14, v6, v178                              // 000000004798: D1CB00B2 06CA0D0E
	v_fma_f32 v179, v15, v6, v179                              // 0000000047A0: D1CB00B3 06CE0D0F
	v_mfma_f32_16x16x32_fp8_fp8 v[12:15], a[72:73], a[48:49], 0// 0000000047A8: D3F3000C 1A026148
	v_mfma_f32_16x16x32_fp8_fp8 v[12:15], a[74:75], a[50:51], v[12:15]// 0000000047B0: D3F3000C 1C32654A
	v_mfma_f32_16x16x32_fp8_fp8 v[12:15], a[76:77], a[52:53], v[12:15]// 0000000047B8: D3F3000C 1C32694C
	v_mfma_f32_16x16x32_fp8_fp8 v[12:15], a[78:79], a[54:55], v[12:15]// 0000000047C0: D3F3000C 1C326D4E
	v_fma_f32 v132, v8, v4, v132                               // 0000000047C8: D1CB0084 06120908
	v_fma_f32 v133, v9, v4, v133                               // 0000000047D0: D1CB0085 06160909
	v_fma_f32 v134, v10, v4, v134                              // 0000000047D8: D1CB0086 061A090A
	v_fma_f32 v135, v11, v4, v135                              // 0000000047E0: D1CB0087 061E090B
	v_mul_f32_dpp v6, v28, v40 row_newbcast:1 row_mask:0xf bank_mask:0xf// 0000000047E8: 0A0C50FA FF01511C
	v_mfma_f32_16x16x32_fp8_fp8 v[8:11], a[80:81], a[48:49], 0 // 0000000047F0: D3F30008 1A026150
	v_mfma_f32_16x16x32_fp8_fp8 v[8:11], a[82:83], a[50:51], v[8:11]// 0000000047F8: D3F30008 1C226552
	v_mfma_f32_16x16x32_fp8_fp8 v[8:11], a[84:85], a[52:53], v[8:11]// 000000004800: D3F30008 1C226954
	v_mfma_f32_16x16x32_fp8_fp8 v[8:11], a[86:87], a[54:55], v[8:11]// 000000004808: D3F30008 1C226D56
	v_fma_f32 v148, v12, v4, v148                              // 000000004810: D1CB0094 0652090C
	v_fma_f32 v149, v13, v4, v149                              // 000000004818: D1CB0095 0656090D
	v_fma_f32 v150, v14, v4, v150                              // 000000004820: D1CB0096 065A090E
	v_fma_f32 v151, v15, v4, v151                              // 000000004828: D1CB0097 065E090F
	v_mfma_f32_16x16x32_fp8_fp8 v[12:15], a[88:89], a[48:49], 0// 000000004830: D3F3000C 1A026158
	v_mfma_f32_16x16x32_fp8_fp8 v[12:15], a[90:91], a[50:51], v[12:15]// 000000004838: D3F3000C 1C32655A
	v_mfma_f32_16x16x32_fp8_fp8 v[12:15], a[92:93], a[52:53], v[12:15]// 000000004840: D3F3000C 1C32695C
	v_mfma_f32_16x16x32_fp8_fp8 v[12:15], a[94:95], a[54:55], v[12:15]// 000000004848: D3F3000C 1C326D5E
	v_fma_f32 v164, v8, v6, v164                               // 000000004850: D1CB00A4 06920D08
	v_fma_f32 v165, v9, v6, v165                               // 000000004858: D1CB00A5 06960D09
	v_fma_f32 v166, v10, v6, v166                              // 000000004860: D1CB00A6 069A0D0A
	v_fma_f32 v167, v11, v6, v167                              // 000000004868: D1CB00A7 069E0D0B
	v_mul_f32_dpp v4, v28, v41 row_newbcast:0 row_mask:0xf bank_mask:0xf// 000000004870: 0A0852FA FF01501C
	v_mfma_f32_16x16x32_fp8_fp8 v[8:11], a[64:65], a[56:57], 0 // 000000004878: D3F30008 1A027140
	v_mfma_f32_16x16x32_fp8_fp8 v[8:11], a[66:67], a[58:59], v[8:11]// 000000004880: D3F30008 1C227542
	v_mfma_f32_16x16x32_fp8_fp8 v[8:11], a[68:69], a[60:61], v[8:11]// 000000004888: D3F30008 1C227944
	v_mfma_f32_16x16x32_fp8_fp8 v[8:11], a[70:71], a[62:63], v[8:11]// 000000004890: D3F30008 1C227D46
	v_fma_f32 v180, v12, v6, v180                              // 000000004898: D1CB00B4 06D20D0C
	v_fma_f32 v181, v13, v6, v181                              // 0000000048A0: D1CB00B5 06D60D0D
	v_fma_f32 v182, v14, v6, v182                              // 0000000048A8: D1CB00B6 06DA0D0E
	v_fma_f32 v183, v15, v6, v183                              // 0000000048B0: D1CB00B7 06DE0D0F
	v_mfma_f32_16x16x32_fp8_fp8 v[12:15], a[72:73], a[56:57], 0// 0000000048B8: D3F3000C 1A027148
	v_mfma_f32_16x16x32_fp8_fp8 v[12:15], a[74:75], a[58:59], v[12:15]// 0000000048C0: D3F3000C 1C32754A
	v_mfma_f32_16x16x32_fp8_fp8 v[12:15], a[76:77], a[60:61], v[12:15]// 0000000048C8: D3F3000C 1C32794C
	v_mfma_f32_16x16x32_fp8_fp8 v[12:15], a[78:79], a[62:63], v[12:15]// 0000000048D0: D3F3000C 1C327D4E
	v_fma_f32 v136, v8, v4, v136                               // 0000000048D8: D1CB0088 06220908
	v_fma_f32 v137, v9, v4, v137                               // 0000000048E0: D1CB0089 06260909
	v_fma_f32 v138, v10, v4, v138                              // 0000000048E8: D1CB008A 062A090A
	v_fma_f32 v139, v11, v4, v139                              // 0000000048F0: D1CB008B 062E090B
	v_mul_f32_dpp v6, v28, v41 row_newbcast:1 row_mask:0xf bank_mask:0xf// 0000000048F8: 0A0C52FA FF01511C
	v_mfma_f32_16x16x32_fp8_fp8 v[8:11], a[80:81], a[56:57], 0 // 000000004900: D3F30008 1A027150
	s_add_u32 s60, 0x180, s80                                  // 000000004908: 803C50FF 00000180
	s_cmp_lt_u32 s60, s81                                      // 000000004910: BF0A513C
	s_cselect_b32 s57, s57, 0                                  // 000000004914: 85398039
	s_cselect_b32 s3, s3, 0                                    // 000000004918: 85038003
	v_mfma_f32_16x16x32_fp8_fp8 v[8:11], a[82:83], a[58:59], v[8:11]// 00000000491C: D3F30008 1C227552
	s_add_u32 s60, 0x100, s80                                  // 000000004924: 803C50FF 00000100
	s_cmp_lt_u32 s60, s81                                      // 00000000492C: BF0A513C
	s_cselect_b32 s58, s58, 0                                  // 000000004930: 853A803A
	v_mfma_f32_16x16x32_fp8_fp8 v[8:11], a[84:85], a[60:61], v[8:11]// 000000004934: D3F30008 1C227954
	s_add_u32 s60, 0x100, s80                                  // 00000000493C: 803C50FF 00000100
	s_cmp_lt_u32 s60, s81                                      // 000000004944: BF0A513C
	s_cselect_b32 s83, s83, 0                                  // 000000004948: 85538053
	s_cselect_b32 s4, s4, 0                                    // 00000000494C: 85048004
	v_mfma_f32_16x16x32_fp8_fp8 v[8:11], a[86:87], a[62:63], v[8:11]// 000000004950: D3F30008 1C227D56
	s_add_u32 s24, s58, s24                                    // 000000004958: 8018183A
	s_addc_u32 s25, 0, s25                                     // 00000000495C: 82191980
	v_fma_f32 v152, v12, v4, v152                              // 000000004960: D1CB0098 0662090C
	v_fma_f32 v153, v13, v4, v153                              // 000000004968: D1CB0099 0666090D
	v_fma_f32 v154, v14, v4, v154                              // 000000004970: D1CB009A 066A090E
	v_fma_f32 v155, v15, v4, v155                              // 000000004978: D1CB009B 066E090F
	v_mfma_f32_16x16x32_fp8_fp8 v[12:15], a[88:89], a[56:57], 0// 000000004980: D3F3000C 1A027158
	s_add_u32 s20, s57, s20                                    // 000000004988: 80141439
	s_addc_u32 s21, 0, s21                                     // 00000000498C: 82151580
	s_add_u32 s28, s3, s28                                     // 000000004990: 801C1C03
	s_addc_u32 s29, 0, s29                                     // 000000004994: 821D1D80
	v_mfma_f32_16x16x32_fp8_fp8 v[12:15], a[90:91], a[58:59], v[12:15]// 000000004998: D3F3000C 1C32755A
	s_add_u32 s84, s83, s84                                    // 0000000049A0: 80545453
	s_addc_u32 s85, 0, s85                                     // 0000000049A4: 82555580
	v_mfma_f32_16x16x32_fp8_fp8 v[12:15], a[92:93], a[60:61], v[12:15]// 0000000049A8: D3F3000C 1C32795C
	s_add_u32 s32, s4, s32                                     // 0000000049B0: 80202004
	s_addc_u32 s33, 0, s33                                     // 0000000049B4: 82212180
	v_mfma_f32_16x16x32_fp8_fp8 v[12:15], a[94:95], a[62:63], v[12:15]// 0000000049B8: D3F3000C 1C327D5E
	v_fma_f32 v168, v8, v6, v168                               // 0000000049C0: D1CB00A8 06A20D08
	v_fma_f32 v169, v9, v6, v169                               // 0000000049C8: D1CB00A9 06A60D09
	v_fma_f32 v170, v10, v6, v170                              // 0000000049D0: D1CB00AA 06AA0D0A
	v_fma_f32 v171, v11, v6, v171                              // 0000000049D8: D1CB00AB 06AE0D0B
	v_fma_f32 v184, v12, v6, v184                              // 0000000049E0: D1CB00B8 06E20D0C
	v_fma_f32 v185, v13, v6, v185                              // 0000000049E8: D1CB00B9 06E60D0D
	v_fma_f32 v186, v14, v6, v186                              // 0000000049F0: D1CB00BA 06EA0D0E
	v_fma_f32 v187, v15, v6, v187                              // 0000000049F8: D1CB00BB 06EE0D0F
	s_addk_i32 s80, 0x80                                       // 000000004A00: B7500080
	s_cmp_lt_i32 s80, s81                                      // 000000004A04: BF045150
	s_cbranch_scc0 label_1268                                  // 000000004A08: BF840A65
	s_waitcnt vmcnt(21) lgkmcnt(0)                             // 000000004A0C: BF8C4075
	v_mul_f32_dpp v4, v26, v42 row_newbcast:0 row_mask:0xf bank_mask:0xf// 000000004A10: 0A0854FA FF01501A
	v_mfma_f32_16x16x32_fp8_fp8 v[8:11], a[96:97], a[0:1], 0   // 000000004A18: D3F30008 1A020160
	buffer_load_dword v24, v22, s[32:35], 0 offen              // 000000004A20: E0501000 80081816
	v_mfma_f32_16x16x32_fp8_fp8 v[8:11], a[98:99], a[2:3], v[8:11]// 000000004A28: D3F30008 1C220562
	buffer_load_dwordx4 a[64:67], v54, s[24:27], 0 offen       // 000000004A30: E05C1000 80864036
	v_mfma_f32_16x16x32_fp8_fp8 v[8:11], a[100:101], a[4:5], v[8:11]// 000000004A38: D3F30008 1C220964
	v_mfma_f32_16x16x32_fp8_fp8 v[8:11], a[102:103], a[6:7], v[8:11]// 000000004A40: D3F30008 1C220D66
	v_mfma_f32_16x16x32_fp8_fp8 v[12:15], a[104:105], a[0:1], 0// 000000004A48: D3F3000C 1A020168
	v_mfma_f32_16x16x32_fp8_fp8 v[12:15], a[106:107], a[2:3], v[12:15]// 000000004A50: D3F3000C 1C32056A
	buffer_load_dwordx4 a[68:71], v54, s[24:27], 0 offen offset:1024// 000000004A58: E05C1400 80864436
	v_mfma_f32_16x16x32_fp8_fp8 v[12:15], a[108:109], a[4:5], v[12:15]// 000000004A60: D3F3000C 1C32096C
	v_mfma_f32_16x16x32_fp8_fp8 v[12:15], a[110:111], a[6:7], v[12:15]// 000000004A68: D3F3000C 1C320D6E
	v_fma_f32 v60, v8, v4, v60                                 // 000000004A70: D1CB003C 04F20908
	v_fma_f32 v61, v9, v4, v61                                 // 000000004A78: D1CB003D 04F60909
	v_fma_f32 v62, v10, v4, v62                                // 000000004A80: D1CB003E 04FA090A
	v_fma_f32 v63, v11, v4, v63                                // 000000004A88: D1CB003F 04FE090B
	v_mul_f32_dpp v6, v26, v42 row_newbcast:1 row_mask:0xf bank_mask:0xf// 000000004A90: 0A0C54FA FF01511A
	v_mfma_f32_16x16x32_fp8_fp8 v[8:11], a[112:113], a[0:1], 0 // 000000004A98: D3F30008 1A020170
	v_mfma_f32_16x16x32_fp8_fp8 v[8:11], a[114:115], a[2:3], v[8:11]// 000000004AA0: D3F30008 1C220572
	buffer_load_dwordx4 a[72:75], v55, s[24:27], 0 offen       // 000000004AA8: E05C1000 80864837
	v_mfma_f32_16x16x32_fp8_fp8 v[8:11], a[116:117], a[4:5], v[8:11]// 000000004AB0: D3F30008 1C220974
	v_mfma_f32_16x16x32_fp8_fp8 v[8:11], a[118:119], a[6:7], v[8:11]// 000000004AB8: D3F30008 1C220D76
	v_fma_f32 v76, v12, v4, v76                                // 000000004AC0: D1CB004C 0532090C
	v_fma_f32 v77, v13, v4, v77                                // 000000004AC8: D1CB004D 0536090D
	v_fma_f32 v78, v14, v4, v78                                // 000000004AD0: D1CB004E 053A090E
	v_fma_f32 v79, v15, v4, v79                                // 000000004AD8: D1CB004F 053E090F
	v_mfma_f32_16x16x32_fp8_fp8 v[12:15], a[120:121], a[0:1], 0// 000000004AE0: D3F3000C 1A020178
	v_mfma_f32_16x16x32_fp8_fp8 v[12:15], a[122:123], a[2:3], v[12:15]// 000000004AE8: D3F3000C 1C32057A
	buffer_load_dwordx4 a[76:79], v55, s[24:27], 0 offen offset:1024// 000000004AF0: E05C1400 80864C37
	v_mfma_f32_16x16x32_fp8_fp8 v[12:15], a[124:125], a[4:5], v[12:15]// 000000004AF8: D3F3000C 1C32097C
	v_mfma_f32_16x16x32_fp8_fp8 v[12:15], a[126:127], a[6:7], v[12:15]// 000000004B00: D3F3000C 1C320D7E
	v_fma_f32 v92, v8, v6, v92                                 // 000000004B08: D1CB005C 05720D08
	v_fma_f32 v93, v9, v6, v93                                 // 000000004B10: D1CB005D 05760D09
	v_fma_f32 v94, v10, v6, v94                                // 000000004B18: D1CB005E 057A0D0A
	v_fma_f32 v95, v11, v6, v95                                // 000000004B20: D1CB005F 057E0D0B
	v_mul_f32_dpp v4, v26, v43 row_newbcast:0 row_mask:0xf bank_mask:0xf// 000000004B28: 0A0856FA FF01501A
	v_mfma_f32_16x16x32_fp8_fp8 v[8:11], a[96:97], a[8:9], 0   // 000000004B30: D3F30008 1A021160
	v_mfma_f32_16x16x32_fp8_fp8 v[8:11], a[98:99], a[10:11], v[8:11]// 000000004B38: D3F30008 1C221562
	buffer_load_dwordx4 a[80:83], v56, s[24:27], 0 offen       // 000000004B40: E05C1000 80865038
	v_mfma_f32_16x16x32_fp8_fp8 v[8:11], a[100:101], a[12:13], v[8:11]// 000000004B48: D3F30008 1C221964
	v_mfma_f32_16x16x32_fp8_fp8 v[8:11], a[102:103], a[14:15], v[8:11]// 000000004B50: D3F30008 1C221D66
	v_fma_f32 v108, v12, v6, v108                              // 000000004B58: D1CB006C 05B20D0C
	v_fma_f32 v109, v13, v6, v109                              // 000000004B60: D1CB006D 05B60D0D
	v_fma_f32 v110, v14, v6, v110                              // 000000004B68: D1CB006E 05BA0D0E
	v_fma_f32 v111, v15, v6, v111                              // 000000004B70: D1CB006F 05BE0D0F
	v_mfma_f32_16x16x32_fp8_fp8 v[12:15], a[104:105], a[8:9], 0// 000000004B78: D3F3000C 1A021168
	v_mfma_f32_16x16x32_fp8_fp8 v[12:15], a[106:107], a[10:11], v[12:15]// 000000004B80: D3F3000C 1C32156A
	buffer_load_dwordx4 a[84:87], v56, s[24:27], 0 offen offset:1024// 000000004B88: E05C1400 80865438
	v_mfma_f32_16x16x32_fp8_fp8 v[12:15], a[108:109], a[12:13], v[12:15]// 000000004B90: D3F3000C 1C32196C
	v_mfma_f32_16x16x32_fp8_fp8 v[12:15], a[110:111], a[14:15], v[12:15]// 000000004B98: D3F3000C 1C321D6E
	v_fma_f32 v64, v8, v4, v64                                 // 000000004BA0: D1CB0040 05020908
	v_fma_f32 v65, v9, v4, v65                                 // 000000004BA8: D1CB0041 05060909
	v_fma_f32 v66, v10, v4, v66                                // 000000004BB0: D1CB0042 050A090A
	v_fma_f32 v67, v11, v4, v67                                // 000000004BB8: D1CB0043 050E090B
	v_mul_f32_dpp v6, v26, v43 row_newbcast:1 row_mask:0xf bank_mask:0xf// 000000004BC0: 0A0C56FA FF01511A
	v_mfma_f32_16x16x32_fp8_fp8 v[8:11], a[112:113], a[8:9], 0 // 000000004BC8: D3F30008 1A021170
	v_mfma_f32_16x16x32_fp8_fp8 v[8:11], a[114:115], a[10:11], v[8:11]// 000000004BD0: D3F30008 1C221572
	buffer_load_dwordx4 a[88:91], v57, s[24:27], 0 offen       // 000000004BD8: E05C1000 80865839
	v_mfma_f32_16x16x32_fp8_fp8 v[8:11], a[116:117], a[12:13], v[8:11]// 000000004BE0: D3F30008 1C221974
	v_mfma_f32_16x16x32_fp8_fp8 v[8:11], a[118:119], a[14:15], v[8:11]// 000000004BE8: D3F30008 1C221D76
	v_fma_f32 v80, v12, v4, v80                                // 000000004BF0: D1CB0050 0542090C
	v_fma_f32 v81, v13, v4, v81                                // 000000004BF8: D1CB0051 0546090D
	v_fma_f32 v82, v14, v4, v82                                // 000000004C00: D1CB0052 054A090E
	v_fma_f32 v83, v15, v4, v83                                // 000000004C08: D1CB0053 054E090F
	v_mfma_f32_16x16x32_fp8_fp8 v[12:15], a[120:121], a[8:9], 0// 000000004C10: D3F3000C 1A021178
	v_mfma_f32_16x16x32_fp8_fp8 v[12:15], a[122:123], a[10:11], v[12:15]// 000000004C18: D3F3000C 1C32157A
	buffer_load_dwordx4 a[92:95], v57, s[24:27], 0 offen offset:1024// 000000004C20: E05C1400 80865C39
	buffer_load_dword v46, s[20:23], 0 offen lds               // 000000004C28: E0511000 8005002E
	s_add_u32 m0, 0x100, s49                                   // 000000004C30: 807C31FF 00000100
	v_mfma_f32_16x16x32_fp8_fp8 v[12:15], a[124:125], a[12:13], v[12:15]// 000000004C38: D3F3000C 1C32197C
	v_mfma_f32_16x16x32_fp8_fp8 v[12:15], a[126:127], a[14:15], v[12:15]// 000000004C40: D3F3000C 1C321D7E
	buffer_load_dword v47, s[20:23], 0 offen lds               // 000000004C48: E0511000 8005002F
	s_add_u32 m0, 0x200, s49                                   // 000000004C50: 807C31FF 00000200
	v_fma_f32 v96, v8, v6, v96                                 // 000000004C58: D1CB0060 05820D08
	v_fma_f32 v97, v9, v6, v97                                 // 000000004C60: D1CB0061 05860D09
	v_fma_f32 v98, v10, v6, v98                                // 000000004C68: D1CB0062 058A0D0A
	v_fma_f32 v99, v11, v6, v99                                // 000000004C70: D1CB0063 058E0D0B
	v_mul_f32_dpp v4, v26, v44 row_newbcast:0 row_mask:0xf bank_mask:0xf// 000000004C78: 0A0858FA FF01501A
	v_mfma_f32_16x16x32_fp8_fp8 v[8:11], a[96:97], a[16:17], 0 // 000000004C80: D3F30008 1A022160
	v_mfma_f32_16x16x32_fp8_fp8 v[8:11], a[98:99], a[18:19], v[8:11]// 000000004C88: D3F30008 1C222562
	buffer_load_dword v48, s[20:23], 0 offen lds               // 000000004C90: E0511000 80050030
	s_add_u32 m0, 0x300, s49                                   // 000000004C98: 807C31FF 00000300
	v_mfma_f32_16x16x32_fp8_fp8 v[8:11], a[100:101], a[20:21], v[8:11]// 000000004CA0: D3F30008 1C222964
	v_mfma_f32_16x16x32_fp8_fp8 v[8:11], a[102:103], a[22:23], v[8:11]// 000000004CA8: D3F30008 1C222D66
	buffer_load_dword v49, s[20:23], 0 offen lds               // 000000004CB0: E0511000 80050031
	s_add_u32 m0, 0x400, s49                                   // 000000004CB8: 807C31FF 00000400
	v_fma_f32 v112, v12, v6, v112                              // 000000004CC0: D1CB0070 05C20D0C
	v_fma_f32 v113, v13, v6, v113                              // 000000004CC8: D1CB0071 05C60D0D
	v_fma_f32 v114, v14, v6, v114                              // 000000004CD0: D1CB0072 05CA0D0E
	v_fma_f32 v115, v15, v6, v115                              // 000000004CD8: D1CB0073 05CE0D0F
	v_mfma_f32_16x16x32_fp8_fp8 v[12:15], a[104:105], a[16:17], 0// 000000004CE0: D3F3000C 1A022168
	v_mfma_f32_16x16x32_fp8_fp8 v[12:15], a[106:107], a[18:19], v[12:15]// 000000004CE8: D3F3000C 1C32256A
	buffer_load_dword v50, s[20:23], 0 offen lds               // 000000004CF0: E0511000 80050032
	s_add_u32 m0, 0x500, s49                                   // 000000004CF8: 807C31FF 00000500
	v_mfma_f32_16x16x32_fp8_fp8 v[12:15], a[108:109], a[20:21], v[12:15]// 000000004D00: D3F3000C 1C32296C
	v_mfma_f32_16x16x32_fp8_fp8 v[12:15], a[110:111], a[22:23], v[12:15]// 000000004D08: D3F3000C 1C322D6E
	buffer_load_dword v51, s[20:23], 0 offen lds               // 000000004D10: E0511000 80050033
	s_add_u32 m0, 0x600, s49                                   // 000000004D18: 807C31FF 00000600
	v_fma_f32 v68, v8, v4, v68                                 // 000000004D20: D1CB0044 05120908
	v_fma_f32 v69, v9, v4, v69                                 // 000000004D28: D1CB0045 05160909
	v_fma_f32 v70, v10, v4, v70                                // 000000004D30: D1CB0046 051A090A
	v_fma_f32 v71, v11, v4, v71                                // 000000004D38: D1CB0047 051E090B
	v_mul_f32_dpp v6, v26, v44 row_newbcast:1 row_mask:0xf bank_mask:0xf// 000000004D40: 0A0C58FA FF01511A
	v_mfma_f32_16x16x32_fp8_fp8 v[8:11], a[112:113], a[16:17], 0// 000000004D48: D3F30008 1A022170
	v_mfma_f32_16x16x32_fp8_fp8 v[8:11], a[114:115], a[18:19], v[8:11]// 000000004D50: D3F30008 1C222572
	buffer_load_dword v52, s[20:23], 0 offen lds               // 000000004D58: E0511000 80050034
	s_add_u32 m0, 0x700, s49                                   // 000000004D60: 807C31FF 00000700
	v_mfma_f32_16x16x32_fp8_fp8 v[8:11], a[116:117], a[20:21], v[8:11]// 000000004D68: D3F30008 1C222974
	v_mfma_f32_16x16x32_fp8_fp8 v[8:11], a[118:119], a[22:23], v[8:11]// 000000004D70: D3F30008 1C222D76
	buffer_load_dword v53, s[20:23], 0 offen lds               // 000000004D78: E0511000 80050035
	s_add_u32 m0, 0, s50                                       // 000000004D80: 807C3280
	v_fma_f32 v84, v12, v4, v84                                // 000000004D84: D1CB0054 0552090C
	v_fma_f32 v85, v13, v4, v85                                // 000000004D8C: D1CB0055 0556090D
	v_fma_f32 v86, v14, v4, v86                                // 000000004D94: D1CB0056 055A090E
	v_fma_f32 v87, v15, v4, v87                                // 000000004D9C: D1CB0057 055E090F
	v_mfma_f32_16x16x32_fp8_fp8 v[12:15], a[120:121], a[16:17], 0// 000000004DA4: D3F3000C 1A022178
	v_mfma_f32_16x16x32_fp8_fp8 v[12:15], a[122:123], a[18:19], v[12:15]// 000000004DAC: D3F3000C 1C32257A
	buffer_load_dword v38, v30, s[28:31], 0 offen              // 000000004DB4: E0501000 8007261E
	v_mfma_f32_16x16x32_fp8_fp8 v[12:15], a[124:125], a[20:21], v[12:15]// 000000004DBC: D3F3000C 1C32297C
	v_mfma_f32_16x16x32_fp8_fp8 v[12:15], a[126:127], a[22:23], v[12:15]// 000000004DC4: D3F3000C 1C322D7E
	buffer_load_dword v39, v31, s[28:31], 0 offen              // 000000004DCC: E0501000 8007271F
	v_fma_f32 v100, v8, v6, v100                               // 000000004DD4: D1CB0064 05920D08
	v_fma_f32 v101, v9, v6, v101                               // 000000004DDC: D1CB0065 05960D09
	v_fma_f32 v102, v10, v6, v102                              // 000000004DE4: D1CB0066 059A0D0A
	v_fma_f32 v103, v11, v6, v103                              // 000000004DEC: D1CB0067 059E0D0B
	v_mul_f32_dpp v4, v26, v45 row_newbcast:0 row_mask:0xf bank_mask:0xf// 000000004DF4: 0A085AFA FF01501A
	v_mfma_f32_16x16x32_fp8_fp8 v[8:11], a[96:97], a[24:25], 0 // 000000004DFC: D3F30008 1A023160
	v_mfma_f32_16x16x32_fp8_fp8 v[8:11], a[98:99], a[26:27], v[8:11]// 000000004E04: D3F30008 1C223562
	buffer_load_dword v40, v32, s[28:31], 0 offen              // 000000004E0C: E0501000 80072820
	v_mfma_f32_16x16x32_fp8_fp8 v[8:11], a[100:101], a[28:29], v[8:11]// 000000004E14: D3F30008 1C223964
	v_mfma_f32_16x16x32_fp8_fp8 v[8:11], a[102:103], a[30:31], v[8:11]// 000000004E1C: D3F30008 1C223D66
	buffer_load_dword v41, v33, s[28:31], 0 offen              // 000000004E24: E0501000 80072921
	v_fma_f32 v116, v12, v6, v116                              // 000000004E2C: D1CB0074 05D20D0C
	v_fma_f32 v117, v13, v6, v117                              // 000000004E34: D1CB0075 05D60D0D
	v_fma_f32 v118, v14, v6, v118                              // 000000004E3C: D1CB0076 05DA0D0E
	v_fma_f32 v119, v15, v6, v119                              // 000000004E44: D1CB0077 05DE0D0F
	v_mfma_f32_16x16x32_fp8_fp8 v[12:15], a[104:105], a[24:25], 0// 000000004E4C: D3F3000C 1A023168
	v_mfma_f32_16x16x32_fp8_fp8 v[12:15], a[106:107], a[26:27], v[12:15]// 000000004E54: D3F3000C 1C32356A
	v_mfma_f32_16x16x32_fp8_fp8 v[12:15], a[108:109], a[28:29], v[12:15]// 000000004E5C: D3F3000C 1C32396C
	v_mfma_f32_16x16x32_fp8_fp8 v[12:15], a[110:111], a[30:31], v[12:15]// 000000004E64: D3F3000C 1C323D6E
	v_fma_f32 v72, v8, v4, v72                                 // 000000004E6C: D1CB0048 05220908
	v_fma_f32 v73, v9, v4, v73                                 // 000000004E74: D1CB0049 05260909
	v_fma_f32 v74, v10, v4, v74                                // 000000004E7C: D1CB004A 052A090A
	v_fma_f32 v75, v11, v4, v75                                // 000000004E84: D1CB004B 052E090B
	v_mul_f32_dpp v6, v26, v45 row_newbcast:1 row_mask:0xf bank_mask:0xf// 000000004E8C: 0A0C5AFA FF01511A
	v_mfma_f32_16x16x32_fp8_fp8 v[8:11], a[112:113], a[24:25], 0// 000000004E94: D3F30008 1A023170
	v_mfma_f32_16x16x32_fp8_fp8 v[8:11], a[114:115], a[26:27], v[8:11]// 000000004E9C: D3F30008 1C223572
	v_mfma_f32_16x16x32_fp8_fp8 v[8:11], a[116:117], a[28:29], v[8:11]// 000000004EA4: D3F30008 1C223974
	v_mfma_f32_16x16x32_fp8_fp8 v[8:11], a[118:119], a[30:31], v[8:11]// 000000004EAC: D3F30008 1C223D76
	v_fma_f32 v88, v12, v4, v88                                // 000000004EB4: D1CB0058 0562090C
	v_fma_f32 v89, v13, v4, v89                                // 000000004EBC: D1CB0059 0566090D
	v_fma_f32 v90, v14, v4, v90                                // 000000004EC4: D1CB005A 056A090E
	v_fma_f32 v91, v15, v4, v91                                // 000000004ECC: D1CB005B 056E090F
	v_mfma_f32_16x16x32_fp8_fp8 v[12:15], a[120:121], a[24:25], 0// 000000004ED4: D3F3000C 1A023178
	v_mfma_f32_16x16x32_fp8_fp8 v[12:15], a[122:123], a[26:27], v[12:15]// 000000004EDC: D3F3000C 1C32357A
	v_mfma_f32_16x16x32_fp8_fp8 v[12:15], a[124:125], a[28:29], v[12:15]// 000000004EE4: D3F3000C 1C32397C
	v_mfma_f32_16x16x32_fp8_fp8 v[12:15], a[126:127], a[30:31], v[12:15]// 000000004EEC: D3F3000C 1C323D7E
	v_fma_f32 v104, v8, v6, v104                               // 000000004EF4: D1CB0068 05A20D08
	v_fma_f32 v105, v9, v6, v105                               // 000000004EFC: D1CB0069 05A60D09
	v_fma_f32 v106, v10, v6, v106                              // 000000004F04: D1CB006A 05AA0D0A
	v_fma_f32 v107, v11, v6, v107                              // 000000004F0C: D1CB006B 05AE0D0B
	v_fma_f32 v120, v12, v6, v120                              // 000000004F14: D1CB0078 05E20D0C
	v_fma_f32 v121, v13, v6, v121                              // 000000004F1C: D1CB0079 05E60D0D
	v_fma_f32 v122, v14, v6, v122                              // 000000004F24: D1CB007A 05EA0D0E
	v_fma_f32 v123, v15, v6, v123                              // 000000004F2C: D1CB007B 05EE0D0F
	s_waitcnt vmcnt(21)                                        // 000000004F34: BF8C4F75
	s_barrier                                                  // 000000004F38: BF8A0000
	v_mul_f32_dpp v4, v29, v42 row_newbcast:0 row_mask:0xf bank_mask:0xf// 000000004F3C: 0A0854FA FF01501D
	v_mfma_f32_16x16x32_fp8_fp8 v[8:11], a[128:129], a[0:1], 0 // 000000004F44: D3F30008 1A020180
	buffer_load_dword v27, v23, s[32:35], 0 offen              // 000000004F4C: E0501000 80081B17
	v_mfma_f32_16x16x32_fp8_fp8 v[8:11], a[130:131], a[2:3], v[8:11]// 000000004F54: D3F30008 1C220582
	buffer_load_dwordx4 a[96:99], v54, s[84:87], 0 offen       // 000000004F5C: E05C1000 80956036
	v_mfma_f32_16x16x32_fp8_fp8 v[8:11], a[132:133], a[4:5], v[8:11]// 000000004F64: D3F30008 1C220984
	v_mfma_f32_16x16x32_fp8_fp8 v[8:11], a[134:135], a[6:7], v[8:11]// 000000004F6C: D3F30008 1C220D86
	ds_read_b128 a[32:35], v2                                  // 000000004F74: DBFE0000 20000002
	ds_read_b128 a[36:39], v2 offset:64                        // 000000004F7C: DBFE0040 24000002
	v_mfma_f32_16x16x32_fp8_fp8 v[12:15], a[136:137], a[0:1], 0// 000000004F84: D3F3000C 1A020188
	v_mfma_f32_16x16x32_fp8_fp8 v[12:15], a[138:139], a[2:3], v[12:15]// 000000004F8C: D3F3000C 1C32058A
	buffer_load_dwordx4 a[100:103], v54, s[84:87], 0 offen offset:1024// 000000004F94: E05C1400 80956436
	v_mfma_f32_16x16x32_fp8_fp8 v[12:15], a[140:141], a[4:5], v[12:15]// 000000004F9C: D3F3000C 1C32098C
	v_mfma_f32_16x16x32_fp8_fp8 v[12:15], a[142:143], a[6:7], v[12:15]// 000000004FA4: D3F3000C 1C320D8E
	ds_read_b128 a[40:43], v2 offset:512                       // 000000004FAC: DBFE0200 28000002
	ds_read_b128 a[44:47], v2 offset:576                       // 000000004FB4: DBFE0240 2C000002
	v_fma_f32 v124, v8, v4, v124                               // 000000004FBC: D1CB007C 05F20908
	v_fma_f32 v125, v9, v4, v125                               // 000000004FC4: D1CB007D 05F60909
	v_fma_f32 v126, v10, v4, v126                              // 000000004FCC: D1CB007E 05FA090A
	v_fma_f32 v127, v11, v4, v127                              // 000000004FD4: D1CB007F 05FE090B
	v_mul_f32_dpp v6, v29, v42 row_newbcast:1 row_mask:0xf bank_mask:0xf// 000000004FDC: 0A0C54FA FF01511D
	v_mfma_f32_16x16x32_fp8_fp8 v[8:11], a[144:145], a[0:1], 0 // 000000004FE4: D3F30008 1A020190
	v_mfma_f32_16x16x32_fp8_fp8 v[8:11], a[146:147], a[2:3], v[8:11]// 000000004FEC: D3F30008 1C220592
	buffer_load_dwordx4 a[104:107], v55, s[84:87], 0 offen     // 000000004FF4: E05C1000 80956837
	v_mfma_f32_16x16x32_fp8_fp8 v[8:11], a[148:149], a[4:5], v[8:11]// 000000004FFC: D3F30008 1C220994
	v_mfma_f32_16x16x32_fp8_fp8 v[8:11], a[150:151], a[6:7], v[8:11]// 000000005004: D3F30008 1C220D96
	ds_read_b128 a[48:51], v2 offset:1024                      // 00000000500C: DBFE0400 30000002
	ds_read_b128 a[52:55], v2 offset:1088                      // 000000005014: DBFE0440 34000002
	v_fma_f32 v140, v12, v4, v140                              // 00000000501C: D1CB008C 0632090C
	v_fma_f32 v141, v13, v4, v141                              // 000000005024: D1CB008D 0636090D
	v_fma_f32 v142, v14, v4, v142                              // 00000000502C: D1CB008E 063A090E
	v_fma_f32 v143, v15, v4, v143                              // 000000005034: D1CB008F 063E090F
	v_mfma_f32_16x16x32_fp8_fp8 v[12:15], a[152:153], a[0:1], 0// 00000000503C: D3F3000C 1A020198
	v_mfma_f32_16x16x32_fp8_fp8 v[12:15], a[154:155], a[2:3], v[12:15]// 000000005044: D3F3000C 1C32059A
	buffer_load_dwordx4 a[108:111], v55, s[84:87], 0 offen offset:1024// 00000000504C: E05C1400 80956C37
	v_mfma_f32_16x16x32_fp8_fp8 v[12:15], a[156:157], a[4:5], v[12:15]// 000000005054: D3F3000C 1C32099C
	v_mfma_f32_16x16x32_fp8_fp8 v[12:15], a[158:159], a[6:7], v[12:15]// 00000000505C: D3F3000C 1C320D9E
	ds_read_b128 a[56:59], v2 offset:1536                      // 000000005064: DBFE0600 38000002
	ds_read_b128 a[60:63], v2 offset:1600                      // 00000000506C: DBFE0640 3C000002
	v_fma_f32 v156, v8, v6, v156                               // 000000005074: D1CB009C 06720D08
	v_fma_f32 v157, v9, v6, v157                               // 00000000507C: D1CB009D 06760D09
	v_fma_f32 v158, v10, v6, v158                              // 000000005084: D1CB009E 067A0D0A
	v_fma_f32 v159, v11, v6, v159                              // 00000000508C: D1CB009F 067E0D0B
	v_mul_f32_dpp v4, v29, v43 row_newbcast:0 row_mask:0xf bank_mask:0xf// 000000005094: 0A0856FA FF01501D
	v_mfma_f32_16x16x32_fp8_fp8 v[8:11], a[128:129], a[8:9], 0 // 00000000509C: D3F30008 1A021180
	v_mfma_f32_16x16x32_fp8_fp8 v[8:11], a[130:131], a[10:11], v[8:11]// 0000000050A4: D3F30008 1C221582
	buffer_load_dwordx4 a[112:115], v56, s[84:87], 0 offen     // 0000000050AC: E05C1000 80957038
	v_mfma_f32_16x16x32_fp8_fp8 v[8:11], a[132:133], a[12:13], v[8:11]// 0000000050B4: D3F30008 1C221984
	v_mfma_f32_16x16x32_fp8_fp8 v[8:11], a[134:135], a[14:15], v[8:11]// 0000000050BC: D3F30008 1C221D86
	v_fma_f32 v172, v12, v6, v172                              // 0000000050C4: D1CB00AC 06B20D0C
	v_fma_f32 v173, v13, v6, v173                              // 0000000050CC: D1CB00AD 06B60D0D
	v_fma_f32 v174, v14, v6, v174                              // 0000000050D4: D1CB00AE 06BA0D0E
	v_fma_f32 v175, v15, v6, v175                              // 0000000050DC: D1CB00AF 06BE0D0F
	v_mfma_f32_16x16x32_fp8_fp8 v[12:15], a[136:137], a[8:9], 0// 0000000050E4: D3F3000C 1A021188
	v_mfma_f32_16x16x32_fp8_fp8 v[12:15], a[138:139], a[10:11], v[12:15]// 0000000050EC: D3F3000C 1C32158A
	buffer_load_dwordx4 a[116:119], v56, s[84:87], 0 offen offset:1024// 0000000050F4: E05C1400 80957438
	v_mfma_f32_16x16x32_fp8_fp8 v[12:15], a[140:141], a[12:13], v[12:15]// 0000000050FC: D3F3000C 1C32198C
	v_mfma_f32_16x16x32_fp8_fp8 v[12:15], a[142:143], a[14:15], v[12:15]// 000000005104: D3F3000C 1C321D8E
	v_fma_f32 v128, v8, v4, v128                               // 00000000510C: D1CB0080 06020908
	v_fma_f32 v129, v9, v4, v129                               // 000000005114: D1CB0081 06060909
	v_fma_f32 v130, v10, v4, v130                              // 00000000511C: D1CB0082 060A090A
	v_fma_f32 v131, v11, v4, v131                              // 000000005124: D1CB0083 060E090B
	v_mul_f32_dpp v6, v29, v43 row_newbcast:1 row_mask:0xf bank_mask:0xf// 00000000512C: 0A0C56FA FF01511D
	v_mfma_f32_16x16x32_fp8_fp8 v[8:11], a[144:145], a[8:9], 0 // 000000005134: D3F30008 1A021190
	v_mfma_f32_16x16x32_fp8_fp8 v[8:11], a[146:147], a[10:11], v[8:11]// 00000000513C: D3F30008 1C221592
	buffer_load_dwordx4 a[120:123], v57, s[84:87], 0 offen     // 000000005144: E05C1000 80957839
	v_mfma_f32_16x16x32_fp8_fp8 v[8:11], a[148:149], a[12:13], v[8:11]// 00000000514C: D3F30008 1C221994
	v_mfma_f32_16x16x32_fp8_fp8 v[8:11], a[150:151], a[14:15], v[8:11]// 000000005154: D3F30008 1C221D96
	v_fma_f32 v144, v12, v4, v144                              // 00000000515C: D1CB0090 0642090C
	v_fma_f32 v145, v13, v4, v145                              // 000000005164: D1CB0091 0646090D
	v_fma_f32 v146, v14, v4, v146                              // 00000000516C: D1CB0092 064A090E
	v_fma_f32 v147, v15, v4, v147                              // 000000005174: D1CB0093 064E090F
	v_mfma_f32_16x16x32_fp8_fp8 v[12:15], a[152:153], a[8:9], 0// 00000000517C: D3F3000C 1A021198
	v_mfma_f32_16x16x32_fp8_fp8 v[12:15], a[154:155], a[10:11], v[12:15]// 000000005184: D3F3000C 1C32159A
	buffer_load_dwordx4 a[124:127], v57, s[84:87], 0 offen offset:1024// 00000000518C: E05C1400 80957C39
	v_mfma_f32_16x16x32_fp8_fp8 v[12:15], a[156:157], a[12:13], v[12:15]// 000000005194: D3F3000C 1C32199C
	v_mfma_f32_16x16x32_fp8_fp8 v[12:15], a[158:159], a[14:15], v[12:15]// 00000000519C: D3F3000C 1C321D9E
	v_fma_f32 v160, v8, v6, v160                               // 0000000051A4: D1CB00A0 06820D08
	v_fma_f32 v161, v9, v6, v161                               // 0000000051AC: D1CB00A1 06860D09
	v_fma_f32 v162, v10, v6, v162                              // 0000000051B4: D1CB00A2 068A0D0A
	v_fma_f32 v163, v11, v6, v163                              // 0000000051BC: D1CB00A3 068E0D0B
	v_mul_f32_dpp v4, v29, v44 row_newbcast:0 row_mask:0xf bank_mask:0xf// 0000000051C4: 0A0858FA FF01501D
	v_mfma_f32_16x16x32_fp8_fp8 v[8:11], a[128:129], a[16:17], 0// 0000000051CC: D3F30008 1A022180
	v_mfma_f32_16x16x32_fp8_fp8 v[8:11], a[130:131], a[18:19], v[8:11]// 0000000051D4: D3F30008 1C222582
	v_mfma_f32_16x16x32_fp8_fp8 v[8:11], a[132:133], a[20:21], v[8:11]// 0000000051DC: D3F30008 1C222984
	v_mfma_f32_16x16x32_fp8_fp8 v[8:11], a[134:135], a[22:23], v[8:11]// 0000000051E4: D3F30008 1C222D86
	v_fma_f32 v176, v12, v6, v176                              // 0000000051EC: D1CB00B0 06C20D0C
	v_fma_f32 v177, v13, v6, v177                              // 0000000051F4: D1CB00B1 06C60D0D
	v_fma_f32 v178, v14, v6, v178                              // 0000000051FC: D1CB00B2 06CA0D0E
	v_fma_f32 v179, v15, v6, v179                              // 000000005204: D1CB00B3 06CE0D0F
	v_mfma_f32_16x16x32_fp8_fp8 v[12:15], a[136:137], a[16:17], 0// 00000000520C: D3F3000C 1A022188
	v_mfma_f32_16x16x32_fp8_fp8 v[12:15], a[138:139], a[18:19], v[12:15]// 000000005214: D3F3000C 1C32258A
	v_mfma_f32_16x16x32_fp8_fp8 v[12:15], a[140:141], a[20:21], v[12:15]// 00000000521C: D3F3000C 1C32298C
	v_mfma_f32_16x16x32_fp8_fp8 v[12:15], a[142:143], a[22:23], v[12:15]// 000000005224: D3F3000C 1C322D8E
	v_fma_f32 v132, v8, v4, v132                               // 00000000522C: D1CB0084 06120908
	v_fma_f32 v133, v9, v4, v133                               // 000000005234: D1CB0085 06160909
	v_fma_f32 v134, v10, v4, v134                              // 00000000523C: D1CB0086 061A090A
	v_fma_f32 v135, v11, v4, v135                              // 000000005244: D1CB0087 061E090B
	v_mul_f32_dpp v6, v29, v44 row_newbcast:1 row_mask:0xf bank_mask:0xf// 00000000524C: 0A0C58FA FF01511D
	v_mfma_f32_16x16x32_fp8_fp8 v[8:11], a[144:145], a[16:17], 0// 000000005254: D3F30008 1A022190
	v_mfma_f32_16x16x32_fp8_fp8 v[8:11], a[146:147], a[18:19], v[8:11]// 00000000525C: D3F30008 1C222592
	v_mfma_f32_16x16x32_fp8_fp8 v[8:11], a[148:149], a[20:21], v[8:11]// 000000005264: D3F30008 1C222994
	v_mfma_f32_16x16x32_fp8_fp8 v[8:11], a[150:151], a[22:23], v[8:11]// 00000000526C: D3F30008 1C222D96
	v_fma_f32 v148, v12, v4, v148                              // 000000005274: D1CB0094 0652090C
	v_fma_f32 v149, v13, v4, v149                              // 00000000527C: D1CB0095 0656090D
	v_fma_f32 v150, v14, v4, v150                              // 000000005284: D1CB0096 065A090E
	v_fma_f32 v151, v15, v4, v151                              // 00000000528C: D1CB0097 065E090F
	v_mfma_f32_16x16x32_fp8_fp8 v[12:15], a[152:153], a[16:17], 0// 000000005294: D3F3000C 1A022198
	v_mfma_f32_16x16x32_fp8_fp8 v[12:15], a[154:155], a[18:19], v[12:15]// 00000000529C: D3F3000C 1C32259A
	v_mfma_f32_16x16x32_fp8_fp8 v[12:15], a[156:157], a[20:21], v[12:15]// 0000000052A4: D3F3000C 1C32299C
	v_mfma_f32_16x16x32_fp8_fp8 v[12:15], a[158:159], a[22:23], v[12:15]// 0000000052AC: D3F3000C 1C322D9E
	v_fma_f32 v164, v8, v6, v164                               // 0000000052B4: D1CB00A4 06920D08
	v_fma_f32 v165, v9, v6, v165                               // 0000000052BC: D1CB00A5 06960D09
	v_fma_f32 v166, v10, v6, v166                              // 0000000052C4: D1CB00A6 069A0D0A
	v_fma_f32 v167, v11, v6, v167                              // 0000000052CC: D1CB00A7 069E0D0B
	v_mul_f32_dpp v4, v29, v45 row_newbcast:0 row_mask:0xf bank_mask:0xf// 0000000052D4: 0A085AFA FF01501D
	v_mfma_f32_16x16x32_fp8_fp8 v[8:11], a[128:129], a[24:25], 0// 0000000052DC: D3F30008 1A023180
	v_mfma_f32_16x16x32_fp8_fp8 v[8:11], a[130:131], a[26:27], v[8:11]// 0000000052E4: D3F30008 1C223582
	v_mfma_f32_16x16x32_fp8_fp8 v[8:11], a[132:133], a[28:29], v[8:11]// 0000000052EC: D3F30008 1C223984
	v_mfma_f32_16x16x32_fp8_fp8 v[8:11], a[134:135], a[30:31], v[8:11]// 0000000052F4: D3F30008 1C223D86
	v_fma_f32 v180, v12, v6, v180                              // 0000000052FC: D1CB00B4 06D20D0C
	v_fma_f32 v181, v13, v6, v181                              // 000000005304: D1CB00B5 06D60D0D
	v_fma_f32 v182, v14, v6, v182                              // 00000000530C: D1CB00B6 06DA0D0E
	v_fma_f32 v183, v15, v6, v183                              // 000000005314: D1CB00B7 06DE0D0F
	v_mfma_f32_16x16x32_fp8_fp8 v[12:15], a[136:137], a[24:25], 0// 00000000531C: D3F3000C 1A023188
	v_mfma_f32_16x16x32_fp8_fp8 v[12:15], a[138:139], a[26:27], v[12:15]// 000000005324: D3F3000C 1C32358A
	v_mfma_f32_16x16x32_fp8_fp8 v[12:15], a[140:141], a[28:29], v[12:15]// 00000000532C: D3F3000C 1C32398C
	v_mfma_f32_16x16x32_fp8_fp8 v[12:15], a[142:143], a[30:31], v[12:15]// 000000005334: D3F3000C 1C323D8E
	v_fma_f32 v136, v8, v4, v136                               // 00000000533C: D1CB0088 06220908
	v_fma_f32 v137, v9, v4, v137                               // 000000005344: D1CB0089 06260909
	v_fma_f32 v138, v10, v4, v138                              // 00000000534C: D1CB008A 062A090A
	v_fma_f32 v139, v11, v4, v139                              // 000000005354: D1CB008B 062E090B
	v_mul_f32_dpp v6, v29, v45 row_newbcast:1 row_mask:0xf bank_mask:0xf// 00000000535C: 0A0C5AFA FF01511D
	v_mfma_f32_16x16x32_fp8_fp8 v[8:11], a[144:145], a[24:25], 0// 000000005364: D3F30008 1A023190
	s_add_u32 s60, 0x180, s80                                  // 00000000536C: 803C50FF 00000180
	s_cmp_lt_u32 s60, s81                                      // 000000005374: BF0A513C
	s_cselect_b32 s57, s57, 0                                  // 000000005378: 85398039
	s_cselect_b32 s3, s3, 0                                    // 00000000537C: 85038003
	v_mfma_f32_16x16x32_fp8_fp8 v[8:11], a[146:147], a[26:27], v[8:11]// 000000005380: D3F30008 1C223592
	s_add_u32 s60, 0x100, s80                                  // 000000005388: 803C50FF 00000100
	s_cmp_lt_u32 s60, s81                                      // 000000005390: BF0A513C
	s_cselect_b32 s58, s58, 0                                  // 000000005394: 853A803A
	v_mfma_f32_16x16x32_fp8_fp8 v[8:11], a[148:149], a[28:29], v[8:11]// 000000005398: D3F30008 1C223994
	s_add_u32 s60, 0x100, s80                                  // 0000000053A0: 803C50FF 00000100
	s_cmp_lt_u32 s60, s81                                      // 0000000053A8: BF0A513C
	s_cselect_b32 s83, s83, 0                                  // 0000000053AC: 85538053
	s_cselect_b32 s4, s4, 0                                    // 0000000053B0: 85048004
	v_mfma_f32_16x16x32_fp8_fp8 v[8:11], a[150:151], a[30:31], v[8:11]// 0000000053B4: D3F30008 1C223D96
	s_add_u32 s24, s58, s24                                    // 0000000053BC: 8018183A
	s_addc_u32 s25, 0, s25                                     // 0000000053C0: 82191980
	v_fma_f32 v152, v12, v4, v152                              // 0000000053C4: D1CB0098 0662090C
	v_fma_f32 v153, v13, v4, v153                              // 0000000053CC: D1CB0099 0666090D
	v_fma_f32 v154, v14, v4, v154                              // 0000000053D4: D1CB009A 066A090E
	v_fma_f32 v155, v15, v4, v155                              // 0000000053DC: D1CB009B 066E090F
	v_mfma_f32_16x16x32_fp8_fp8 v[12:15], a[152:153], a[24:25], 0// 0000000053E4: D3F3000C 1A023198
	s_add_u32 s20, s57, s20                                    // 0000000053EC: 80141439
	s_addc_u32 s21, 0, s21                                     // 0000000053F0: 82151580
	s_add_u32 s28, s3, s28                                     // 0000000053F4: 801C1C03
	s_addc_u32 s29, 0, s29                                     // 0000000053F8: 821D1D80
	v_mfma_f32_16x16x32_fp8_fp8 v[12:15], a[154:155], a[26:27], v[12:15]// 0000000053FC: D3F3000C 1C32359A
	s_add_u32 s84, s83, s84                                    // 000000005404: 80545453
	s_addc_u32 s85, 0, s85                                     // 000000005408: 82555580
	v_mfma_f32_16x16x32_fp8_fp8 v[12:15], a[156:157], a[28:29], v[12:15]// 00000000540C: D3F3000C 1C32399C
	s_add_u32 s32, s4, s32                                     // 000000005414: 80202004
	s_addc_u32 s33, 0, s33                                     // 000000005418: 82212180
	v_mfma_f32_16x16x32_fp8_fp8 v[12:15], a[158:159], a[30:31], v[12:15]// 00000000541C: D3F3000C 1C323D9E
	v_fma_f32 v168, v8, v6, v168                               // 000000005424: D1CB00A8 06A20D08
	v_fma_f32 v169, v9, v6, v169                               // 00000000542C: D1CB00A9 06A60D09
	v_fma_f32 v170, v10, v6, v170                              // 000000005434: D1CB00AA 06AA0D0A
	v_fma_f32 v171, v11, v6, v171                              // 00000000543C: D1CB00AB 06AE0D0B
	v_fma_f32 v184, v12, v6, v184                              // 000000005444: D1CB00B8 06E20D0C
	v_fma_f32 v185, v13, v6, v185                              // 00000000544C: D1CB00B9 06E60D0D
	v_fma_f32 v186, v14, v6, v186                              // 000000005454: D1CB00BA 06EA0D0E
	v_fma_f32 v187, v15, v6, v187                              // 00000000545C: D1CB00BB 06EE0D0F
	s_addk_i32 s80, 0x80                                       // 000000005464: B7500080
	s_cmp_lt_i32 s80, s81                                      // 000000005468: BF045150
	s_cbranch_scc0 label_1268                                  // 00000000546C: BF8407CC
	s_waitcnt vmcnt(21) lgkmcnt(0)                             // 000000005470: BF8C4075
	v_mul_f32_dpp v4, v24, v34 row_newbcast:0 row_mask:0xf bank_mask:0xf// 000000005474: 0A0844FA FF015018
	v_mfma_f32_16x16x32_fp8_fp8 v[8:11], a[64:65], a[32:33], 0 // 00000000547C: D3F30008 1A024140
	buffer_load_dword v25, v22, s[32:35], 0 offen              // 000000005484: E0501000 80081916
	v_mfma_f32_16x16x32_fp8_fp8 v[8:11], a[66:67], a[34:35], v[8:11]// 00000000548C: D3F30008 1C224542
	buffer_load_dwordx4 a[128:131], v54, s[24:27], 0 offen     // 000000005494: E05C1000 80868036
	v_mfma_f32_16x16x32_fp8_fp8 v[8:11], a[68:69], a[36:37], v[8:11]// 00000000549C: D3F30008 1C224944
	v_mfma_f32_16x16x32_fp8_fp8 v[8:11], a[70:71], a[38:39], v[8:11]// 0000000054A4: D3F30008 1C224D46
	v_mfma_f32_16x16x32_fp8_fp8 v[12:15], a[72:73], a[32:33], 0// 0000000054AC: D3F3000C 1A024148
	v_mfma_f32_16x16x32_fp8_fp8 v[12:15], a[74:75], a[34:35], v[12:15]// 0000000054B4: D3F3000C 1C32454A
	buffer_load_dwordx4 a[132:135], v54, s[24:27], 0 offen offset:1024// 0000000054BC: E05C1400 80868436
	v_mfma_f32_16x16x32_fp8_fp8 v[12:15], a[76:77], a[36:37], v[12:15]// 0000000054C4: D3F3000C 1C32494C
	v_mfma_f32_16x16x32_fp8_fp8 v[12:15], a[78:79], a[38:39], v[12:15]// 0000000054CC: D3F3000C 1C324D4E
	v_fma_f32 v60, v8, v4, v60                                 // 0000000054D4: D1CB003C 04F20908
	v_fma_f32 v61, v9, v4, v61                                 // 0000000054DC: D1CB003D 04F60909
	v_fma_f32 v62, v10, v4, v62                                // 0000000054E4: D1CB003E 04FA090A
	v_fma_f32 v63, v11, v4, v63                                // 0000000054EC: D1CB003F 04FE090B
	v_mul_f32_dpp v6, v24, v34 row_newbcast:1 row_mask:0xf bank_mask:0xf// 0000000054F4: 0A0C44FA FF015118
	v_mfma_f32_16x16x32_fp8_fp8 v[8:11], a[80:81], a[32:33], 0 // 0000000054FC: D3F30008 1A024150
	v_mfma_f32_16x16x32_fp8_fp8 v[8:11], a[82:83], a[34:35], v[8:11]// 000000005504: D3F30008 1C224552
	buffer_load_dwordx4 a[136:139], v55, s[24:27], 0 offen     // 00000000550C: E05C1000 80868837
	v_mfma_f32_16x16x32_fp8_fp8 v[8:11], a[84:85], a[36:37], v[8:11]// 000000005514: D3F30008 1C224954
	v_mfma_f32_16x16x32_fp8_fp8 v[8:11], a[86:87], a[38:39], v[8:11]// 00000000551C: D3F30008 1C224D56
	v_fma_f32 v76, v12, v4, v76                                // 000000005524: D1CB004C 0532090C
	v_fma_f32 v77, v13, v4, v77                                // 00000000552C: D1CB004D 0536090D
	v_fma_f32 v78, v14, v4, v78                                // 000000005534: D1CB004E 053A090E
	v_fma_f32 v79, v15, v4, v79                                // 00000000553C: D1CB004F 053E090F
	v_mfma_f32_16x16x32_fp8_fp8 v[12:15], a[88:89], a[32:33], 0// 000000005544: D3F3000C 1A024158
	v_mfma_f32_16x16x32_fp8_fp8 v[12:15], a[90:91], a[34:35], v[12:15]// 00000000554C: D3F3000C 1C32455A
	buffer_load_dwordx4 a[140:143], v55, s[24:27], 0 offen offset:1024// 000000005554: E05C1400 80868C37
	v_mfma_f32_16x16x32_fp8_fp8 v[12:15], a[92:93], a[36:37], v[12:15]// 00000000555C: D3F3000C 1C32495C
	v_mfma_f32_16x16x32_fp8_fp8 v[12:15], a[94:95], a[38:39], v[12:15]// 000000005564: D3F3000C 1C324D5E
	v_fma_f32 v92, v8, v6, v92                                 // 00000000556C: D1CB005C 05720D08
	v_fma_f32 v93, v9, v6, v93                                 // 000000005574: D1CB005D 05760D09
	v_fma_f32 v94, v10, v6, v94                                // 00000000557C: D1CB005E 057A0D0A
	v_fma_f32 v95, v11, v6, v95                                // 000000005584: D1CB005F 057E0D0B
	v_mul_f32_dpp v4, v24, v35 row_newbcast:0 row_mask:0xf bank_mask:0xf// 00000000558C: 0A0846FA FF015018
	v_mfma_f32_16x16x32_fp8_fp8 v[8:11], a[64:65], a[40:41], 0 // 000000005594: D3F30008 1A025140
	v_mfma_f32_16x16x32_fp8_fp8 v[8:11], a[66:67], a[42:43], v[8:11]// 00000000559C: D3F30008 1C225542
	buffer_load_dwordx4 a[144:147], v56, s[24:27], 0 offen     // 0000000055A4: E05C1000 80869038
	v_mfma_f32_16x16x32_fp8_fp8 v[8:11], a[68:69], a[44:45], v[8:11]// 0000000055AC: D3F30008 1C225944
	v_mfma_f32_16x16x32_fp8_fp8 v[8:11], a[70:71], a[46:47], v[8:11]// 0000000055B4: D3F30008 1C225D46
	v_fma_f32 v108, v12, v6, v108                              // 0000000055BC: D1CB006C 05B20D0C
	v_fma_f32 v109, v13, v6, v109                              // 0000000055C4: D1CB006D 05B60D0D
	v_fma_f32 v110, v14, v6, v110                              // 0000000055CC: D1CB006E 05BA0D0E
	v_fma_f32 v111, v15, v6, v111                              // 0000000055D4: D1CB006F 05BE0D0F
	v_mfma_f32_16x16x32_fp8_fp8 v[12:15], a[72:73], a[40:41], 0// 0000000055DC: D3F3000C 1A025148
	v_mfma_f32_16x16x32_fp8_fp8 v[12:15], a[74:75], a[42:43], v[12:15]// 0000000055E4: D3F3000C 1C32554A
	buffer_load_dwordx4 a[148:151], v56, s[24:27], 0 offen offset:1024// 0000000055EC: E05C1400 80869438
	v_mfma_f32_16x16x32_fp8_fp8 v[12:15], a[76:77], a[44:45], v[12:15]// 0000000055F4: D3F3000C 1C32594C
	v_mfma_f32_16x16x32_fp8_fp8 v[12:15], a[78:79], a[46:47], v[12:15]// 0000000055FC: D3F3000C 1C325D4E
	v_fma_f32 v64, v8, v4, v64                                 // 000000005604: D1CB0040 05020908
	v_fma_f32 v65, v9, v4, v65                                 // 00000000560C: D1CB0041 05060909
	v_fma_f32 v66, v10, v4, v66                                // 000000005614: D1CB0042 050A090A
	v_fma_f32 v67, v11, v4, v67                                // 00000000561C: D1CB0043 050E090B
	v_mul_f32_dpp v6, v24, v35 row_newbcast:1 row_mask:0xf bank_mask:0xf// 000000005624: 0A0C46FA FF015118
	v_mfma_f32_16x16x32_fp8_fp8 v[8:11], a[80:81], a[40:41], 0 // 00000000562C: D3F30008 1A025150
	v_mfma_f32_16x16x32_fp8_fp8 v[8:11], a[82:83], a[42:43], v[8:11]// 000000005634: D3F30008 1C225552
	buffer_load_dwordx4 a[152:155], v57, s[24:27], 0 offen     // 00000000563C: E05C1000 80869839
	v_mfma_f32_16x16x32_fp8_fp8 v[8:11], a[84:85], a[44:45], v[8:11]// 000000005644: D3F30008 1C225954
	v_mfma_f32_16x16x32_fp8_fp8 v[8:11], a[86:87], a[46:47], v[8:11]// 00000000564C: D3F30008 1C225D56
	v_fma_f32 v80, v12, v4, v80                                // 000000005654: D1CB0050 0542090C
	v_fma_f32 v81, v13, v4, v81                                // 00000000565C: D1CB0051 0546090D
	v_fma_f32 v82, v14, v4, v82                                // 000000005664: D1CB0052 054A090E
	v_fma_f32 v83, v15, v4, v83                                // 00000000566C: D1CB0053 054E090F
	v_mfma_f32_16x16x32_fp8_fp8 v[12:15], a[88:89], a[40:41], 0// 000000005674: D3F3000C 1A025158
	v_mfma_f32_16x16x32_fp8_fp8 v[12:15], a[90:91], a[42:43], v[12:15]// 00000000567C: D3F3000C 1C32555A
	buffer_load_dwordx4 a[156:159], v57, s[24:27], 0 offen offset:1024// 000000005684: E05C1400 80869C39
	buffer_load_dword v46, s[20:23], 0 offen lds               // 00000000568C: E0511000 8005002E
	s_add_u32 m0, 0x100, s50                                   // 000000005694: 807C32FF 00000100
	v_mfma_f32_16x16x32_fp8_fp8 v[12:15], a[92:93], a[44:45], v[12:15]// 00000000569C: D3F3000C 1C32595C
	v_mfma_f32_16x16x32_fp8_fp8 v[12:15], a[94:95], a[46:47], v[12:15]// 0000000056A4: D3F3000C 1C325D5E
	buffer_load_dword v47, s[20:23], 0 offen lds               // 0000000056AC: E0511000 8005002F
	s_add_u32 m0, 0x200, s50                                   // 0000000056B4: 807C32FF 00000200
	v_fma_f32 v96, v8, v6, v96                                 // 0000000056BC: D1CB0060 05820D08
	v_fma_f32 v97, v9, v6, v97                                 // 0000000056C4: D1CB0061 05860D09
	v_fma_f32 v98, v10, v6, v98                                // 0000000056CC: D1CB0062 058A0D0A
	v_fma_f32 v99, v11, v6, v99                                // 0000000056D4: D1CB0063 058E0D0B
	v_mul_f32_dpp v4, v24, v36 row_newbcast:0 row_mask:0xf bank_mask:0xf// 0000000056DC: 0A0848FA FF015018
	v_mfma_f32_16x16x32_fp8_fp8 v[8:11], a[64:65], a[48:49], 0 // 0000000056E4: D3F30008 1A026140
	v_mfma_f32_16x16x32_fp8_fp8 v[8:11], a[66:67], a[50:51], v[8:11]// 0000000056EC: D3F30008 1C226542
	buffer_load_dword v48, s[20:23], 0 offen lds               // 0000000056F4: E0511000 80050030
	s_add_u32 m0, 0x300, s50                                   // 0000000056FC: 807C32FF 00000300
	v_mfma_f32_16x16x32_fp8_fp8 v[8:11], a[68:69], a[52:53], v[8:11]// 000000005704: D3F30008 1C226944
	v_mfma_f32_16x16x32_fp8_fp8 v[8:11], a[70:71], a[54:55], v[8:11]// 00000000570C: D3F30008 1C226D46
	buffer_load_dword v49, s[20:23], 0 offen lds               // 000000005714: E0511000 80050031
	s_add_u32 m0, 0x400, s50                                   // 00000000571C: 807C32FF 00000400
	v_fma_f32 v112, v12, v6, v112                              // 000000005724: D1CB0070 05C20D0C
	v_fma_f32 v113, v13, v6, v113                              // 00000000572C: D1CB0071 05C60D0D
	v_fma_f32 v114, v14, v6, v114                              // 000000005734: D1CB0072 05CA0D0E
	v_fma_f32 v115, v15, v6, v115                              // 00000000573C: D1CB0073 05CE0D0F
	v_mfma_f32_16x16x32_fp8_fp8 v[12:15], a[72:73], a[48:49], 0// 000000005744: D3F3000C 1A026148
	v_mfma_f32_16x16x32_fp8_fp8 v[12:15], a[74:75], a[50:51], v[12:15]// 00000000574C: D3F3000C 1C32654A
	buffer_load_dword v50, s[20:23], 0 offen lds               // 000000005754: E0511000 80050032
	s_add_u32 m0, 0x500, s50                                   // 00000000575C: 807C32FF 00000500
	v_mfma_f32_16x16x32_fp8_fp8 v[12:15], a[76:77], a[52:53], v[12:15]// 000000005764: D3F3000C 1C32694C
	v_mfma_f32_16x16x32_fp8_fp8 v[12:15], a[78:79], a[54:55], v[12:15]// 00000000576C: D3F3000C 1C326D4E
	buffer_load_dword v51, s[20:23], 0 offen lds               // 000000005774: E0511000 80050033
	s_add_u32 m0, 0x600, s50                                   // 00000000577C: 807C32FF 00000600
	v_fma_f32 v68, v8, v4, v68                                 // 000000005784: D1CB0044 05120908
	v_fma_f32 v69, v9, v4, v69                                 // 00000000578C: D1CB0045 05160909
	v_fma_f32 v70, v10, v4, v70                                // 000000005794: D1CB0046 051A090A
	v_fma_f32 v71, v11, v4, v71                                // 00000000579C: D1CB0047 051E090B
	v_mul_f32_dpp v6, v24, v36 row_newbcast:1 row_mask:0xf bank_mask:0xf// 0000000057A4: 0A0C48FA FF015118
	v_mfma_f32_16x16x32_fp8_fp8 v[8:11], a[80:81], a[48:49], 0 // 0000000057AC: D3F30008 1A026150
	v_mfma_f32_16x16x32_fp8_fp8 v[8:11], a[82:83], a[50:51], v[8:11]// 0000000057B4: D3F30008 1C226552
	buffer_load_dword v52, s[20:23], 0 offen lds               // 0000000057BC: E0511000 80050034
	s_add_u32 m0, 0x700, s50                                   // 0000000057C4: 807C32FF 00000700
	v_mfma_f32_16x16x32_fp8_fp8 v[8:11], a[84:85], a[52:53], v[8:11]// 0000000057CC: D3F30008 1C226954
	v_mfma_f32_16x16x32_fp8_fp8 v[8:11], a[86:87], a[54:55], v[8:11]// 0000000057D4: D3F30008 1C226D56
	buffer_load_dword v53, s[20:23], 0 offen lds               // 0000000057DC: E0511000 80050035
	s_add_u32 m0, 0, s48                                       // 0000000057E4: 807C3080
	v_fma_f32 v84, v12, v4, v84                                // 0000000057E8: D1CB0054 0552090C
	v_fma_f32 v85, v13, v4, v85                                // 0000000057F0: D1CB0055 0556090D
	v_fma_f32 v86, v14, v4, v86                                // 0000000057F8: D1CB0056 055A090E
	v_fma_f32 v87, v15, v4, v87                                // 000000005800: D1CB0057 055E090F
	v_mfma_f32_16x16x32_fp8_fp8 v[12:15], a[88:89], a[48:49], 0// 000000005808: D3F3000C 1A026158
	v_mfma_f32_16x16x32_fp8_fp8 v[12:15], a[90:91], a[50:51], v[12:15]// 000000005810: D3F3000C 1C32655A
	buffer_load_dword v42, v30, s[28:31], 0 offen              // 000000005818: E0501000 80072A1E
	v_mfma_f32_16x16x32_fp8_fp8 v[12:15], a[92:93], a[52:53], v[12:15]// 000000005820: D3F3000C 1C32695C
	v_mfma_f32_16x16x32_fp8_fp8 v[12:15], a[94:95], a[54:55], v[12:15]// 000000005828: D3F3000C 1C326D5E
	buffer_load_dword v43, v31, s[28:31], 0 offen              // 000000005830: E0501000 80072B1F
	v_fma_f32 v100, v8, v6, v100                               // 000000005838: D1CB0064 05920D08
	v_fma_f32 v101, v9, v6, v101                               // 000000005840: D1CB0065 05960D09
	v_fma_f32 v102, v10, v6, v102                              // 000000005848: D1CB0066 059A0D0A
	v_fma_f32 v103, v11, v6, v103                              // 000000005850: D1CB0067 059E0D0B
	v_mul_f32_dpp v4, v24, v37 row_newbcast:0 row_mask:0xf bank_mask:0xf// 000000005858: 0A084AFA FF015018
	v_mfma_f32_16x16x32_fp8_fp8 v[8:11], a[64:65], a[56:57], 0 // 000000005860: D3F30008 1A027140
	v_mfma_f32_16x16x32_fp8_fp8 v[8:11], a[66:67], a[58:59], v[8:11]// 000000005868: D3F30008 1C227542
	buffer_load_dword v44, v32, s[28:31], 0 offen              // 000000005870: E0501000 80072C20
	v_mfma_f32_16x16x32_fp8_fp8 v[8:11], a[68:69], a[60:61], v[8:11]// 000000005878: D3F30008 1C227944
	v_mfma_f32_16x16x32_fp8_fp8 v[8:11], a[70:71], a[62:63], v[8:11]// 000000005880: D3F30008 1C227D46
	buffer_load_dword v45, v33, s[28:31], 0 offen              // 000000005888: E0501000 80072D21
	v_fma_f32 v116, v12, v6, v116                              // 000000005890: D1CB0074 05D20D0C
	v_fma_f32 v117, v13, v6, v117                              // 000000005898: D1CB0075 05D60D0D
	v_fma_f32 v118, v14, v6, v118                              // 0000000058A0: D1CB0076 05DA0D0E
	v_fma_f32 v119, v15, v6, v119                              // 0000000058A8: D1CB0077 05DE0D0F
	v_mfma_f32_16x16x32_fp8_fp8 v[12:15], a[72:73], a[56:57], 0// 0000000058B0: D3F3000C 1A027148
	v_mfma_f32_16x16x32_fp8_fp8 v[12:15], a[74:75], a[58:59], v[12:15]// 0000000058B8: D3F3000C 1C32754A
	v_mfma_f32_16x16x32_fp8_fp8 v[12:15], a[76:77], a[60:61], v[12:15]// 0000000058C0: D3F3000C 1C32794C
	v_mfma_f32_16x16x32_fp8_fp8 v[12:15], a[78:79], a[62:63], v[12:15]// 0000000058C8: D3F3000C 1C327D4E
	v_fma_f32 v72, v8, v4, v72                                 // 0000000058D0: D1CB0048 05220908
	v_fma_f32 v73, v9, v4, v73                                 // 0000000058D8: D1CB0049 05260909
	v_fma_f32 v74, v10, v4, v74                                // 0000000058E0: D1CB004A 052A090A
	v_fma_f32 v75, v11, v4, v75                                // 0000000058E8: D1CB004B 052E090B
	v_mul_f32_dpp v6, v24, v37 row_newbcast:1 row_mask:0xf bank_mask:0xf// 0000000058F0: 0A0C4AFA FF015118
	v_mfma_f32_16x16x32_fp8_fp8 v[8:11], a[80:81], a[56:57], 0 // 0000000058F8: D3F30008 1A027150
	v_mfma_f32_16x16x32_fp8_fp8 v[8:11], a[82:83], a[58:59], v[8:11]// 000000005900: D3F30008 1C227552
	v_mfma_f32_16x16x32_fp8_fp8 v[8:11], a[84:85], a[60:61], v[8:11]// 000000005908: D3F30008 1C227954
	v_mfma_f32_16x16x32_fp8_fp8 v[8:11], a[86:87], a[62:63], v[8:11]// 000000005910: D3F30008 1C227D56
	v_fma_f32 v88, v12, v4, v88                                // 000000005918: D1CB0058 0562090C
	v_fma_f32 v89, v13, v4, v89                                // 000000005920: D1CB0059 0566090D
	v_fma_f32 v90, v14, v4, v90                                // 000000005928: D1CB005A 056A090E
	v_fma_f32 v91, v15, v4, v91                                // 000000005930: D1CB005B 056E090F
	v_mfma_f32_16x16x32_fp8_fp8 v[12:15], a[88:89], a[56:57], 0// 000000005938: D3F3000C 1A027158
	v_mfma_f32_16x16x32_fp8_fp8 v[12:15], a[90:91], a[58:59], v[12:15]// 000000005940: D3F3000C 1C32755A
	v_mfma_f32_16x16x32_fp8_fp8 v[12:15], a[92:93], a[60:61], v[12:15]// 000000005948: D3F3000C 1C32795C
	v_mfma_f32_16x16x32_fp8_fp8 v[12:15], a[94:95], a[62:63], v[12:15]// 000000005950: D3F3000C 1C327D5E
	v_fma_f32 v104, v8, v6, v104                               // 000000005958: D1CB0068 05A20D08
	v_fma_f32 v105, v9, v6, v105                               // 000000005960: D1CB0069 05A60D09
	v_fma_f32 v106, v10, v6, v106                              // 000000005968: D1CB006A 05AA0D0A
	v_fma_f32 v107, v11, v6, v107                              // 000000005970: D1CB006B 05AE0D0B
	v_fma_f32 v120, v12, v6, v120                              // 000000005978: D1CB0078 05E20D0C
	v_fma_f32 v121, v13, v6, v121                              // 000000005980: D1CB0079 05E60D0D
	v_fma_f32 v122, v14, v6, v122                              // 000000005988: D1CB007A 05EA0D0E
	v_fma_f32 v123, v15, v6, v123                              // 000000005990: D1CB007B 05EE0D0F
	s_waitcnt vmcnt(21)                                        // 000000005998: BF8C4F75
	s_barrier                                                  // 00000000599C: BF8A0000
	v_mul_f32_dpp v4, v27, v34 row_newbcast:0 row_mask:0xf bank_mask:0xf// 0000000059A0: 0A0844FA FF01501B
	v_mfma_f32_16x16x32_fp8_fp8 v[8:11], a[96:97], a[32:33], 0 // 0000000059A8: D3F30008 1A024160
	buffer_load_dword v28, v23, s[32:35], 0 offen              // 0000000059B0: E0501000 80081C17
	v_mfma_f32_16x16x32_fp8_fp8 v[8:11], a[98:99], a[34:35], v[8:11]// 0000000059B8: D3F30008 1C224562
	buffer_load_dwordx4 a[64:67], v54, s[84:87], 0 offen       // 0000000059C0: E05C1000 80954036
	v_mfma_f32_16x16x32_fp8_fp8 v[8:11], a[100:101], a[36:37], v[8:11]// 0000000059C8: D3F30008 1C224964
	v_mfma_f32_16x16x32_fp8_fp8 v[8:11], a[102:103], a[38:39], v[8:11]// 0000000059D0: D3F30008 1C224D66
	ds_read_b128 a[0:3], v2 offset:8320                        // 0000000059D8: DBFE2080 00000002
	ds_read_b128 a[4:7], v2 offset:8384                        // 0000000059E0: DBFE20C0 04000002
	v_mfma_f32_16x16x32_fp8_fp8 v[12:15], a[104:105], a[32:33], 0// 0000000059E8: D3F3000C 1A024168
	v_mfma_f32_16x16x32_fp8_fp8 v[12:15], a[106:107], a[34:35], v[12:15]// 0000000059F0: D3F3000C 1C32456A
	buffer_load_dwordx4 a[68:71], v54, s[84:87], 0 offen offset:1024// 0000000059F8: E05C1400 80954436
	v_mfma_f32_16x16x32_fp8_fp8 v[12:15], a[108:109], a[36:37], v[12:15]// 000000005A00: D3F3000C 1C32496C
	v_mfma_f32_16x16x32_fp8_fp8 v[12:15], a[110:111], a[38:39], v[12:15]// 000000005A08: D3F3000C 1C324D6E
	ds_read_b128 a[8:11], v2 offset:8832                       // 000000005A10: DBFE2280 08000002
	ds_read_b128 a[12:15], v2 offset:8896                      // 000000005A18: DBFE22C0 0C000002
	v_fma_f32 v124, v8, v4, v124                               // 000000005A20: D1CB007C 05F20908
	v_fma_f32 v125, v9, v4, v125                               // 000000005A28: D1CB007D 05F60909
	v_fma_f32 v126, v10, v4, v126                              // 000000005A30: D1CB007E 05FA090A
	v_fma_f32 v127, v11, v4, v127                              // 000000005A38: D1CB007F 05FE090B
	v_mul_f32_dpp v6, v27, v34 row_newbcast:1 row_mask:0xf bank_mask:0xf// 000000005A40: 0A0C44FA FF01511B
	v_mfma_f32_16x16x32_fp8_fp8 v[8:11], a[112:113], a[32:33], 0// 000000005A48: D3F30008 1A024170
	v_mfma_f32_16x16x32_fp8_fp8 v[8:11], a[114:115], a[34:35], v[8:11]// 000000005A50: D3F30008 1C224572
	buffer_load_dwordx4 a[72:75], v55, s[84:87], 0 offen       // 000000005A58: E05C1000 80954837
	v_mfma_f32_16x16x32_fp8_fp8 v[8:11], a[116:117], a[36:37], v[8:11]// 000000005A60: D3F30008 1C224974
	v_mfma_f32_16x16x32_fp8_fp8 v[8:11], a[118:119], a[38:39], v[8:11]// 000000005A68: D3F30008 1C224D76
	ds_read_b128 a[16:19], v2 offset:9344                      // 000000005A70: DBFE2480 10000002
	ds_read_b128 a[20:23], v2 offset:9408                      // 000000005A78: DBFE24C0 14000002
	v_fma_f32 v140, v12, v4, v140                              // 000000005A80: D1CB008C 0632090C
	v_fma_f32 v141, v13, v4, v141                              // 000000005A88: D1CB008D 0636090D
	v_fma_f32 v142, v14, v4, v142                              // 000000005A90: D1CB008E 063A090E
	v_fma_f32 v143, v15, v4, v143                              // 000000005A98: D1CB008F 063E090F
	v_mfma_f32_16x16x32_fp8_fp8 v[12:15], a[120:121], a[32:33], 0// 000000005AA0: D3F3000C 1A024178
	v_mfma_f32_16x16x32_fp8_fp8 v[12:15], a[122:123], a[34:35], v[12:15]// 000000005AA8: D3F3000C 1C32457A
	buffer_load_dwordx4 a[76:79], v55, s[84:87], 0 offen offset:1024// 000000005AB0: E05C1400 80954C37
	v_mfma_f32_16x16x32_fp8_fp8 v[12:15], a[124:125], a[36:37], v[12:15]// 000000005AB8: D3F3000C 1C32497C
	v_mfma_f32_16x16x32_fp8_fp8 v[12:15], a[126:127], a[38:39], v[12:15]// 000000005AC0: D3F3000C 1C324D7E
	ds_read_b128 a[24:27], v2 offset:9856                      // 000000005AC8: DBFE2680 18000002
	ds_read_b128 a[28:31], v2 offset:9920                      // 000000005AD0: DBFE26C0 1C000002
	v_fma_f32 v156, v8, v6, v156                               // 000000005AD8: D1CB009C 06720D08
	v_fma_f32 v157, v9, v6, v157                               // 000000005AE0: D1CB009D 06760D09
	v_fma_f32 v158, v10, v6, v158                              // 000000005AE8: D1CB009E 067A0D0A
	v_fma_f32 v159, v11, v6, v159                              // 000000005AF0: D1CB009F 067E0D0B
	v_mul_f32_dpp v4, v27, v35 row_newbcast:0 row_mask:0xf bank_mask:0xf// 000000005AF8: 0A0846FA FF01501B
	v_mfma_f32_16x16x32_fp8_fp8 v[8:11], a[96:97], a[40:41], 0 // 000000005B00: D3F30008 1A025160
	v_mfma_f32_16x16x32_fp8_fp8 v[8:11], a[98:99], a[42:43], v[8:11]// 000000005B08: D3F30008 1C225562
	buffer_load_dwordx4 a[80:83], v56, s[84:87], 0 offen       // 000000005B10: E05C1000 80955038
	v_mfma_f32_16x16x32_fp8_fp8 v[8:11], a[100:101], a[44:45], v[8:11]// 000000005B18: D3F30008 1C225964
	v_mfma_f32_16x16x32_fp8_fp8 v[8:11], a[102:103], a[46:47], v[8:11]// 000000005B20: D3F30008 1C225D66
	v_fma_f32 v172, v12, v6, v172                              // 000000005B28: D1CB00AC 06B20D0C
	v_fma_f32 v173, v13, v6, v173                              // 000000005B30: D1CB00AD 06B60D0D
	v_fma_f32 v174, v14, v6, v174                              // 000000005B38: D1CB00AE 06BA0D0E
	v_fma_f32 v175, v15, v6, v175                              // 000000005B40: D1CB00AF 06BE0D0F
	v_mfma_f32_16x16x32_fp8_fp8 v[12:15], a[104:105], a[40:41], 0// 000000005B48: D3F3000C 1A025168
	v_mfma_f32_16x16x32_fp8_fp8 v[12:15], a[106:107], a[42:43], v[12:15]// 000000005B50: D3F3000C 1C32556A
	buffer_load_dwordx4 a[84:87], v56, s[84:87], 0 offen offset:1024// 000000005B58: E05C1400 80955438
	v_mfma_f32_16x16x32_fp8_fp8 v[12:15], a[108:109], a[44:45], v[12:15]// 000000005B60: D3F3000C 1C32596C
	v_mfma_f32_16x16x32_fp8_fp8 v[12:15], a[110:111], a[46:47], v[12:15]// 000000005B68: D3F3000C 1C325D6E
	v_fma_f32 v128, v8, v4, v128                               // 000000005B70: D1CB0080 06020908
	v_fma_f32 v129, v9, v4, v129                               // 000000005B78: D1CB0081 06060909
	v_fma_f32 v130, v10, v4, v130                              // 000000005B80: D1CB0082 060A090A
	v_fma_f32 v131, v11, v4, v131                              // 000000005B88: D1CB0083 060E090B
	v_mul_f32_dpp v6, v27, v35 row_newbcast:1 row_mask:0xf bank_mask:0xf// 000000005B90: 0A0C46FA FF01511B
	v_mfma_f32_16x16x32_fp8_fp8 v[8:11], a[112:113], a[40:41], 0// 000000005B98: D3F30008 1A025170
	v_mfma_f32_16x16x32_fp8_fp8 v[8:11], a[114:115], a[42:43], v[8:11]// 000000005BA0: D3F30008 1C225572
	buffer_load_dwordx4 a[88:91], v57, s[84:87], 0 offen       // 000000005BA8: E05C1000 80955839
	v_mfma_f32_16x16x32_fp8_fp8 v[8:11], a[116:117], a[44:45], v[8:11]// 000000005BB0: D3F30008 1C225974
	v_mfma_f32_16x16x32_fp8_fp8 v[8:11], a[118:119], a[46:47], v[8:11]// 000000005BB8: D3F30008 1C225D76
	v_fma_f32 v144, v12, v4, v144                              // 000000005BC0: D1CB0090 0642090C
	v_fma_f32 v145, v13, v4, v145                              // 000000005BC8: D1CB0091 0646090D
	v_fma_f32 v146, v14, v4, v146                              // 000000005BD0: D1CB0092 064A090E
	v_fma_f32 v147, v15, v4, v147                              // 000000005BD8: D1CB0093 064E090F
	v_mfma_f32_16x16x32_fp8_fp8 v[12:15], a[120:121], a[40:41], 0// 000000005BE0: D3F3000C 1A025178
	v_mfma_f32_16x16x32_fp8_fp8 v[12:15], a[122:123], a[42:43], v[12:15]// 000000005BE8: D3F3000C 1C32557A
	buffer_load_dwordx4 a[92:95], v57, s[84:87], 0 offen offset:1024// 000000005BF0: E05C1400 80955C39
	v_mfma_f32_16x16x32_fp8_fp8 v[12:15], a[124:125], a[44:45], v[12:15]// 000000005BF8: D3F3000C 1C32597C
	v_mfma_f32_16x16x32_fp8_fp8 v[12:15], a[126:127], a[46:47], v[12:15]// 000000005C00: D3F3000C 1C325D7E
	v_fma_f32 v160, v8, v6, v160                               // 000000005C08: D1CB00A0 06820D08
	v_fma_f32 v161, v9, v6, v161                               // 000000005C10: D1CB00A1 06860D09
	v_fma_f32 v162, v10, v6, v162                              // 000000005C18: D1CB00A2 068A0D0A
	v_fma_f32 v163, v11, v6, v163                              // 000000005C20: D1CB00A3 068E0D0B
	v_mul_f32_dpp v4, v27, v36 row_newbcast:0 row_mask:0xf bank_mask:0xf// 000000005C28: 0A0848FA FF01501B
	v_mfma_f32_16x16x32_fp8_fp8 v[8:11], a[96:97], a[48:49], 0 // 000000005C30: D3F30008 1A026160
	v_mfma_f32_16x16x32_fp8_fp8 v[8:11], a[98:99], a[50:51], v[8:11]// 000000005C38: D3F30008 1C226562
	v_mfma_f32_16x16x32_fp8_fp8 v[8:11], a[100:101], a[52:53], v[8:11]// 000000005C40: D3F30008 1C226964
	v_mfma_f32_16x16x32_fp8_fp8 v[8:11], a[102:103], a[54:55], v[8:11]// 000000005C48: D3F30008 1C226D66
	v_fma_f32 v176, v12, v6, v176                              // 000000005C50: D1CB00B0 06C20D0C
	v_fma_f32 v177, v13, v6, v177                              // 000000005C58: D1CB00B1 06C60D0D
	v_fma_f32 v178, v14, v6, v178                              // 000000005C60: D1CB00B2 06CA0D0E
	v_fma_f32 v179, v15, v6, v179                              // 000000005C68: D1CB00B3 06CE0D0F
	v_mfma_f32_16x16x32_fp8_fp8 v[12:15], a[104:105], a[48:49], 0// 000000005C70: D3F3000C 1A026168
	v_mfma_f32_16x16x32_fp8_fp8 v[12:15], a[106:107], a[50:51], v[12:15]// 000000005C78: D3F3000C 1C32656A
	v_mfma_f32_16x16x32_fp8_fp8 v[12:15], a[108:109], a[52:53], v[12:15]// 000000005C80: D3F3000C 1C32696C
	v_mfma_f32_16x16x32_fp8_fp8 v[12:15], a[110:111], a[54:55], v[12:15]// 000000005C88: D3F3000C 1C326D6E
	v_fma_f32 v132, v8, v4, v132                               // 000000005C90: D1CB0084 06120908
	v_fma_f32 v133, v9, v4, v133                               // 000000005C98: D1CB0085 06160909
	v_fma_f32 v134, v10, v4, v134                              // 000000005CA0: D1CB0086 061A090A
	v_fma_f32 v135, v11, v4, v135                              // 000000005CA8: D1CB0087 061E090B
	v_mul_f32_dpp v6, v27, v36 row_newbcast:1 row_mask:0xf bank_mask:0xf// 000000005CB0: 0A0C48FA FF01511B
	v_mfma_f32_16x16x32_fp8_fp8 v[8:11], a[112:113], a[48:49], 0// 000000005CB8: D3F30008 1A026170
	v_mfma_f32_16x16x32_fp8_fp8 v[8:11], a[114:115], a[50:51], v[8:11]// 000000005CC0: D3F30008 1C226572
	v_mfma_f32_16x16x32_fp8_fp8 v[8:11], a[116:117], a[52:53], v[8:11]// 000000005CC8: D3F30008 1C226974
	v_mfma_f32_16x16x32_fp8_fp8 v[8:11], a[118:119], a[54:55], v[8:11]// 000000005CD0: D3F30008 1C226D76
	v_fma_f32 v148, v12, v4, v148                              // 000000005CD8: D1CB0094 0652090C
	v_fma_f32 v149, v13, v4, v149                              // 000000005CE0: D1CB0095 0656090D
	v_fma_f32 v150, v14, v4, v150                              // 000000005CE8: D1CB0096 065A090E
	v_fma_f32 v151, v15, v4, v151                              // 000000005CF0: D1CB0097 065E090F
	v_mfma_f32_16x16x32_fp8_fp8 v[12:15], a[120:121], a[48:49], 0// 000000005CF8: D3F3000C 1A026178
	v_mfma_f32_16x16x32_fp8_fp8 v[12:15], a[122:123], a[50:51], v[12:15]// 000000005D00: D3F3000C 1C32657A
	v_mfma_f32_16x16x32_fp8_fp8 v[12:15], a[124:125], a[52:53], v[12:15]// 000000005D08: D3F3000C 1C32697C
	v_mfma_f32_16x16x32_fp8_fp8 v[12:15], a[126:127], a[54:55], v[12:15]// 000000005D10: D3F3000C 1C326D7E
	v_fma_f32 v164, v8, v6, v164                               // 000000005D18: D1CB00A4 06920D08
	v_fma_f32 v165, v9, v6, v165                               // 000000005D20: D1CB00A5 06960D09
	v_fma_f32 v166, v10, v6, v166                              // 000000005D28: D1CB00A6 069A0D0A
	v_fma_f32 v167, v11, v6, v167                              // 000000005D30: D1CB00A7 069E0D0B
	v_mul_f32_dpp v4, v27, v37 row_newbcast:0 row_mask:0xf bank_mask:0xf// 000000005D38: 0A084AFA FF01501B
	v_mfma_f32_16x16x32_fp8_fp8 v[8:11], a[96:97], a[56:57], 0 // 000000005D40: D3F30008 1A027160
	v_mfma_f32_16x16x32_fp8_fp8 v[8:11], a[98:99], a[58:59], v[8:11]// 000000005D48: D3F30008 1C227562
	v_mfma_f32_16x16x32_fp8_fp8 v[8:11], a[100:101], a[60:61], v[8:11]// 000000005D50: D3F30008 1C227964
	v_mfma_f32_16x16x32_fp8_fp8 v[8:11], a[102:103], a[62:63], v[8:11]// 000000005D58: D3F30008 1C227D66
	v_fma_f32 v180, v12, v6, v180                              // 000000005D60: D1CB00B4 06D20D0C
	v_fma_f32 v181, v13, v6, v181                              // 000000005D68: D1CB00B5 06D60D0D
	v_fma_f32 v182, v14, v6, v182                              // 000000005D70: D1CB00B6 06DA0D0E
	v_fma_f32 v183, v15, v6, v183                              // 000000005D78: D1CB00B7 06DE0D0F
	v_mfma_f32_16x16x32_fp8_fp8 v[12:15], a[104:105], a[56:57], 0// 000000005D80: D3F3000C 1A027168
	v_mfma_f32_16x16x32_fp8_fp8 v[12:15], a[106:107], a[58:59], v[12:15]// 000000005D88: D3F3000C 1C32756A
	v_mfma_f32_16x16x32_fp8_fp8 v[12:15], a[108:109], a[60:61], v[12:15]// 000000005D90: D3F3000C 1C32796C
	v_mfma_f32_16x16x32_fp8_fp8 v[12:15], a[110:111], a[62:63], v[12:15]// 000000005D98: D3F3000C 1C327D6E
	v_fma_f32 v136, v8, v4, v136                               // 000000005DA0: D1CB0088 06220908
	v_fma_f32 v137, v9, v4, v137                               // 000000005DA8: D1CB0089 06260909
	v_fma_f32 v138, v10, v4, v138                              // 000000005DB0: D1CB008A 062A090A
	v_fma_f32 v139, v11, v4, v139                              // 000000005DB8: D1CB008B 062E090B
	v_mul_f32_dpp v6, v27, v37 row_newbcast:1 row_mask:0xf bank_mask:0xf// 000000005DC0: 0A0C4AFA FF01511B
	v_mfma_f32_16x16x32_fp8_fp8 v[8:11], a[112:113], a[56:57], 0// 000000005DC8: D3F30008 1A027170
	s_add_u32 s60, 0x180, s80                                  // 000000005DD0: 803C50FF 00000180
	s_cmp_lt_u32 s60, s81                                      // 000000005DD8: BF0A513C
	s_cselect_b32 s57, s57, 0                                  // 000000005DDC: 85398039
	s_cselect_b32 s3, s3, 0                                    // 000000005DE0: 85038003
	v_mfma_f32_16x16x32_fp8_fp8 v[8:11], a[114:115], a[58:59], v[8:11]// 000000005DE4: D3F30008 1C227572
	s_add_u32 s60, 0x100, s80                                  // 000000005DEC: 803C50FF 00000100
	s_cmp_lt_u32 s60, s81                                      // 000000005DF4: BF0A513C
	s_cselect_b32 s58, s58, 0                                  // 000000005DF8: 853A803A
	v_mfma_f32_16x16x32_fp8_fp8 v[8:11], a[116:117], a[60:61], v[8:11]// 000000005DFC: D3F30008 1C227974
	s_add_u32 s60, 0x100, s80                                  // 000000005E04: 803C50FF 00000100
	s_cmp_lt_u32 s60, s81                                      // 000000005E0C: BF0A513C
	s_cselect_b32 s83, s83, 0                                  // 000000005E10: 85538053
	s_cselect_b32 s4, s4, 0                                    // 000000005E14: 85048004
	v_mfma_f32_16x16x32_fp8_fp8 v[8:11], a[118:119], a[62:63], v[8:11]// 000000005E18: D3F30008 1C227D76
	s_add_u32 s24, s58, s24                                    // 000000005E20: 8018183A
	s_addc_u32 s25, 0, s25                                     // 000000005E24: 82191980
	v_fma_f32 v152, v12, v4, v152                              // 000000005E28: D1CB0098 0662090C
	v_fma_f32 v153, v13, v4, v153                              // 000000005E30: D1CB0099 0666090D
	v_fma_f32 v154, v14, v4, v154                              // 000000005E38: D1CB009A 066A090E
	v_fma_f32 v155, v15, v4, v155                              // 000000005E40: D1CB009B 066E090F
	v_mfma_f32_16x16x32_fp8_fp8 v[12:15], a[120:121], a[56:57], 0// 000000005E48: D3F3000C 1A027178
	s_add_u32 s20, s57, s20                                    // 000000005E50: 80141439
	s_addc_u32 s21, 0, s21                                     // 000000005E54: 82151580
	s_add_u32 s28, s3, s28                                     // 000000005E58: 801C1C03
	s_addc_u32 s29, 0, s29                                     // 000000005E5C: 821D1D80
	v_mfma_f32_16x16x32_fp8_fp8 v[12:15], a[122:123], a[58:59], v[12:15]// 000000005E60: D3F3000C 1C32757A
	s_add_u32 s84, s83, s84                                    // 000000005E68: 80545453
	s_addc_u32 s85, 0, s85                                     // 000000005E6C: 82555580
	v_mfma_f32_16x16x32_fp8_fp8 v[12:15], a[124:125], a[60:61], v[12:15]// 000000005E70: D3F3000C 1C32797C
	s_add_u32 s32, s4, s32                                     // 000000005E78: 80202004
	s_addc_u32 s33, 0, s33                                     // 000000005E7C: 82212180
	v_mfma_f32_16x16x32_fp8_fp8 v[12:15], a[126:127], a[62:63], v[12:15]// 000000005E80: D3F3000C 1C327D7E
	v_fma_f32 v168, v8, v6, v168                               // 000000005E88: D1CB00A8 06A20D08
	v_fma_f32 v169, v9, v6, v169                               // 000000005E90: D1CB00A9 06A60D09
	v_fma_f32 v170, v10, v6, v170                              // 000000005E98: D1CB00AA 06AA0D0A
	v_fma_f32 v171, v11, v6, v171                              // 000000005EA0: D1CB00AB 06AE0D0B
	v_fma_f32 v184, v12, v6, v184                              // 000000005EA8: D1CB00B8 06E20D0C
	v_fma_f32 v185, v13, v6, v185                              // 000000005EB0: D1CB00B9 06E60D0D
	v_fma_f32 v186, v14, v6, v186                              // 000000005EB8: D1CB00BA 06EA0D0E
	v_fma_f32 v187, v15, v6, v187                              // 000000005EC0: D1CB00BB 06EE0D0F
	s_addk_i32 s80, 0x80                                       // 000000005EC8: B7500080
	s_cmp_lt_i32 s80, s81                                      // 000000005ECC: BF045150
	s_cbranch_scc0 label_1268                                  // 000000005ED0: BF840533
	s_waitcnt vmcnt(21) lgkmcnt(0)                             // 000000005ED4: BF8C4075
	v_mul_f32_dpp v4, v25, v38 row_newbcast:0 row_mask:0xf bank_mask:0xf// 000000005ED8: 0A084CFA FF015019
	v_mfma_f32_16x16x32_fp8_fp8 v[8:11], a[128:129], a[0:1], 0 // 000000005EE0: D3F30008 1A020180
	buffer_load_dword v26, v22, s[32:35], 0 offen              // 000000005EE8: E0501000 80081A16
	v_mfma_f32_16x16x32_fp8_fp8 v[8:11], a[130:131], a[2:3], v[8:11]// 000000005EF0: D3F30008 1C220582
	buffer_load_dwordx4 a[96:99], v54, s[24:27], 0 offen       // 000000005EF8: E05C1000 80866036
	v_mfma_f32_16x16x32_fp8_fp8 v[8:11], a[132:133], a[4:5], v[8:11]// 000000005F00: D3F30008 1C220984
	v_mfma_f32_16x16x32_fp8_fp8 v[8:11], a[134:135], a[6:7], v[8:11]// 000000005F08: D3F30008 1C220D86
	v_mfma_f32_16x16x32_fp8_fp8 v[12:15], a[136:137], a[0:1], 0// 000000005F10: D3F3000C 1A020188
	v_mfma_f32_16x16x32_fp8_fp8 v[12:15], a[138:139], a[2:3], v[12:15]// 000000005F18: D3F3000C 1C32058A
	buffer_load_dwordx4 a[100:103], v54, s[24:27], 0 offen offset:1024// 000000005F20: E05C1400 80866436
	v_mfma_f32_16x16x32_fp8_fp8 v[12:15], a[140:141], a[4:5], v[12:15]// 000000005F28: D3F3000C 1C32098C
	v_mfma_f32_16x16x32_fp8_fp8 v[12:15], a[142:143], a[6:7], v[12:15]// 000000005F30: D3F3000C 1C320D8E
	v_fma_f32 v60, v8, v4, v60                                 // 000000005F38: D1CB003C 04F20908
	v_fma_f32 v61, v9, v4, v61                                 // 000000005F40: D1CB003D 04F60909
	v_fma_f32 v62, v10, v4, v62                                // 000000005F48: D1CB003E 04FA090A
	v_fma_f32 v63, v11, v4, v63                                // 000000005F50: D1CB003F 04FE090B
	v_mul_f32_dpp v6, v25, v38 row_newbcast:1 row_mask:0xf bank_mask:0xf// 000000005F58: 0A0C4CFA FF015119
	v_mfma_f32_16x16x32_fp8_fp8 v[8:11], a[144:145], a[0:1], 0 // 000000005F60: D3F30008 1A020190
	v_mfma_f32_16x16x32_fp8_fp8 v[8:11], a[146:147], a[2:3], v[8:11]// 000000005F68: D3F30008 1C220592
	buffer_load_dwordx4 a[104:107], v55, s[24:27], 0 offen     // 000000005F70: E05C1000 80866837
	v_mfma_f32_16x16x32_fp8_fp8 v[8:11], a[148:149], a[4:5], v[8:11]// 000000005F78: D3F30008 1C220994
	v_mfma_f32_16x16x32_fp8_fp8 v[8:11], a[150:151], a[6:7], v[8:11]// 000000005F80: D3F30008 1C220D96
	v_fma_f32 v76, v12, v4, v76                                // 000000005F88: D1CB004C 0532090C
	v_fma_f32 v77, v13, v4, v77                                // 000000005F90: D1CB004D 0536090D
	v_fma_f32 v78, v14, v4, v78                                // 000000005F98: D1CB004E 053A090E
	v_fma_f32 v79, v15, v4, v79                                // 000000005FA0: D1CB004F 053E090F
	v_mfma_f32_16x16x32_fp8_fp8 v[12:15], a[152:153], a[0:1], 0// 000000005FA8: D3F3000C 1A020198
	v_mfma_f32_16x16x32_fp8_fp8 v[12:15], a[154:155], a[2:3], v[12:15]// 000000005FB0: D3F3000C 1C32059A
	buffer_load_dwordx4 a[108:111], v55, s[24:27], 0 offen offset:1024// 000000005FB8: E05C1400 80866C37
	v_mfma_f32_16x16x32_fp8_fp8 v[12:15], a[156:157], a[4:5], v[12:15]// 000000005FC0: D3F3000C 1C32099C
	v_mfma_f32_16x16x32_fp8_fp8 v[12:15], a[158:159], a[6:7], v[12:15]// 000000005FC8: D3F3000C 1C320D9E
	v_fma_f32 v92, v8, v6, v92                                 // 000000005FD0: D1CB005C 05720D08
	v_fma_f32 v93, v9, v6, v93                                 // 000000005FD8: D1CB005D 05760D09
	v_fma_f32 v94, v10, v6, v94                                // 000000005FE0: D1CB005E 057A0D0A
	v_fma_f32 v95, v11, v6, v95                                // 000000005FE8: D1CB005F 057E0D0B
	v_mul_f32_dpp v4, v25, v39 row_newbcast:0 row_mask:0xf bank_mask:0xf// 000000005FF0: 0A084EFA FF015019
	v_mfma_f32_16x16x32_fp8_fp8 v[8:11], a[128:129], a[8:9], 0 // 000000005FF8: D3F30008 1A021180
	v_mfma_f32_16x16x32_fp8_fp8 v[8:11], a[130:131], a[10:11], v[8:11]// 000000006000: D3F30008 1C221582
	buffer_load_dwordx4 a[112:115], v56, s[24:27], 0 offen     // 000000006008: E05C1000 80867038
	v_mfma_f32_16x16x32_fp8_fp8 v[8:11], a[132:133], a[12:13], v[8:11]// 000000006010: D3F30008 1C221984
	v_mfma_f32_16x16x32_fp8_fp8 v[8:11], a[134:135], a[14:15], v[8:11]// 000000006018: D3F30008 1C221D86
	v_fma_f32 v108, v12, v6, v108                              // 000000006020: D1CB006C 05B20D0C
	v_fma_f32 v109, v13, v6, v109                              // 000000006028: D1CB006D 05B60D0D
	v_fma_f32 v110, v14, v6, v110                              // 000000006030: D1CB006E 05BA0D0E
	v_fma_f32 v111, v15, v6, v111                              // 000000006038: D1CB006F 05BE0D0F
	v_mfma_f32_16x16x32_fp8_fp8 v[12:15], a[136:137], a[8:9], 0// 000000006040: D3F3000C 1A021188
	v_mfma_f32_16x16x32_fp8_fp8 v[12:15], a[138:139], a[10:11], v[12:15]// 000000006048: D3F3000C 1C32158A
	buffer_load_dwordx4 a[116:119], v56, s[24:27], 0 offen offset:1024// 000000006050: E05C1400 80867438
	v_mfma_f32_16x16x32_fp8_fp8 v[12:15], a[140:141], a[12:13], v[12:15]// 000000006058: D3F3000C 1C32198C
	v_mfma_f32_16x16x32_fp8_fp8 v[12:15], a[142:143], a[14:15], v[12:15]// 000000006060: D3F3000C 1C321D8E
	v_fma_f32 v64, v8, v4, v64                                 // 000000006068: D1CB0040 05020908
	v_fma_f32 v65, v9, v4, v65                                 // 000000006070: D1CB0041 05060909
	v_fma_f32 v66, v10, v4, v66                                // 000000006078: D1CB0042 050A090A
	v_fma_f32 v67, v11, v4, v67                                // 000000006080: D1CB0043 050E090B
	v_mul_f32_dpp v6, v25, v39 row_newbcast:1 row_mask:0xf bank_mask:0xf// 000000006088: 0A0C4EFA FF015119
	v_mfma_f32_16x16x32_fp8_fp8 v[8:11], a[144:145], a[8:9], 0 // 000000006090: D3F30008 1A021190
	v_mfma_f32_16x16x32_fp8_fp8 v[8:11], a[146:147], a[10:11], v[8:11]// 000000006098: D3F30008 1C221592
	buffer_load_dwordx4 a[120:123], v57, s[24:27], 0 offen     // 0000000060A0: E05C1000 80867839
	v_mfma_f32_16x16x32_fp8_fp8 v[8:11], a[148:149], a[12:13], v[8:11]// 0000000060A8: D3F30008 1C221994
	v_mfma_f32_16x16x32_fp8_fp8 v[8:11], a[150:151], a[14:15], v[8:11]// 0000000060B0: D3F30008 1C221D96
	v_fma_f32 v80, v12, v4, v80                                // 0000000060B8: D1CB0050 0542090C
	v_fma_f32 v81, v13, v4, v81                                // 0000000060C0: D1CB0051 0546090D
	v_fma_f32 v82, v14, v4, v82                                // 0000000060C8: D1CB0052 054A090E
	v_fma_f32 v83, v15, v4, v83                                // 0000000060D0: D1CB0053 054E090F
	v_mfma_f32_16x16x32_fp8_fp8 v[12:15], a[152:153], a[8:9], 0// 0000000060D8: D3F3000C 1A021198
	v_mfma_f32_16x16x32_fp8_fp8 v[12:15], a[154:155], a[10:11], v[12:15]// 0000000060E0: D3F3000C 1C32159A
	buffer_load_dwordx4 a[124:127], v57, s[24:27], 0 offen offset:1024// 0000000060E8: E05C1400 80867C39
	buffer_load_dword v46, s[20:23], 0 offen lds               // 0000000060F0: E0511000 8005002E
	s_add_u32 m0, 0x100, s48                                   // 0000000060F8: 807C30FF 00000100
	v_mfma_f32_16x16x32_fp8_fp8 v[12:15], a[156:157], a[12:13], v[12:15]// 000000006100: D3F3000C 1C32199C
	v_mfma_f32_16x16x32_fp8_fp8 v[12:15], a[158:159], a[14:15], v[12:15]// 000000006108: D3F3000C 1C321D9E
	buffer_load_dword v47, s[20:23], 0 offen lds               // 000000006110: E0511000 8005002F
	s_add_u32 m0, 0x200, s48                                   // 000000006118: 807C30FF 00000200
	v_fma_f32 v96, v8, v6, v96                                 // 000000006120: D1CB0060 05820D08
	v_fma_f32 v97, v9, v6, v97                                 // 000000006128: D1CB0061 05860D09
	v_fma_f32 v98, v10, v6, v98                                // 000000006130: D1CB0062 058A0D0A
	v_fma_f32 v99, v11, v6, v99                                // 000000006138: D1CB0063 058E0D0B
	v_mul_f32_dpp v4, v25, v40 row_newbcast:0 row_mask:0xf bank_mask:0xf// 000000006140: 0A0850FA FF015019
	v_mfma_f32_16x16x32_fp8_fp8 v[8:11], a[128:129], a[16:17], 0// 000000006148: D3F30008 1A022180
	v_mfma_f32_16x16x32_fp8_fp8 v[8:11], a[130:131], a[18:19], v[8:11]// 000000006150: D3F30008 1C222582
	buffer_load_dword v48, s[20:23], 0 offen lds               // 000000006158: E0511000 80050030
	s_add_u32 m0, 0x300, s48                                   // 000000006160: 807C30FF 00000300
	v_mfma_f32_16x16x32_fp8_fp8 v[8:11], a[132:133], a[20:21], v[8:11]// 000000006168: D3F30008 1C222984
	v_mfma_f32_16x16x32_fp8_fp8 v[8:11], a[134:135], a[22:23], v[8:11]// 000000006170: D3F30008 1C222D86
	buffer_load_dword v49, s[20:23], 0 offen lds               // 000000006178: E0511000 80050031
	s_add_u32 m0, 0x400, s48                                   // 000000006180: 807C30FF 00000400
	v_fma_f32 v112, v12, v6, v112                              // 000000006188: D1CB0070 05C20D0C
	v_fma_f32 v113, v13, v6, v113                              // 000000006190: D1CB0071 05C60D0D
	v_fma_f32 v114, v14, v6, v114                              // 000000006198: D1CB0072 05CA0D0E
	v_fma_f32 v115, v15, v6, v115                              // 0000000061A0: D1CB0073 05CE0D0F
	v_mfma_f32_16x16x32_fp8_fp8 v[12:15], a[136:137], a[16:17], 0// 0000000061A8: D3F3000C 1A022188
	v_mfma_f32_16x16x32_fp8_fp8 v[12:15], a[138:139], a[18:19], v[12:15]// 0000000061B0: D3F3000C 1C32258A
	buffer_load_dword v50, s[20:23], 0 offen lds               // 0000000061B8: E0511000 80050032
	s_add_u32 m0, 0x500, s48                                   // 0000000061C0: 807C30FF 00000500
	v_mfma_f32_16x16x32_fp8_fp8 v[12:15], a[140:141], a[20:21], v[12:15]// 0000000061C8: D3F3000C 1C32298C
	v_mfma_f32_16x16x32_fp8_fp8 v[12:15], a[142:143], a[22:23], v[12:15]// 0000000061D0: D3F3000C 1C322D8E
	buffer_load_dword v51, s[20:23], 0 offen lds               // 0000000061D8: E0511000 80050033
	s_add_u32 m0, 0x600, s48                                   // 0000000061E0: 807C30FF 00000600
	v_fma_f32 v68, v8, v4, v68                                 // 0000000061E8: D1CB0044 05120908
	v_fma_f32 v69, v9, v4, v69                                 // 0000000061F0: D1CB0045 05160909
	v_fma_f32 v70, v10, v4, v70                                // 0000000061F8: D1CB0046 051A090A
	v_fma_f32 v71, v11, v4, v71                                // 000000006200: D1CB0047 051E090B
	v_mul_f32_dpp v6, v25, v40 row_newbcast:1 row_mask:0xf bank_mask:0xf// 000000006208: 0A0C50FA FF015119
	v_mfma_f32_16x16x32_fp8_fp8 v[8:11], a[144:145], a[16:17], 0// 000000006210: D3F30008 1A022190
	v_mfma_f32_16x16x32_fp8_fp8 v[8:11], a[146:147], a[18:19], v[8:11]// 000000006218: D3F30008 1C222592
	buffer_load_dword v52, s[20:23], 0 offen lds               // 000000006220: E0511000 80050034
	s_add_u32 m0, 0x700, s48                                   // 000000006228: 807C30FF 00000700
	v_mfma_f32_16x16x32_fp8_fp8 v[8:11], a[148:149], a[20:21], v[8:11]// 000000006230: D3F30008 1C222994
	v_mfma_f32_16x16x32_fp8_fp8 v[8:11], a[150:151], a[22:23], v[8:11]// 000000006238: D3F30008 1C222D96
	buffer_load_dword v53, s[20:23], 0 offen lds               // 000000006240: E0511000 80050035
	s_add_u32 m0, 0, s49                                       // 000000006248: 807C3180
	v_fma_f32 v84, v12, v4, v84                                // 00000000624C: D1CB0054 0552090C
	v_fma_f32 v85, v13, v4, v85                                // 000000006254: D1CB0055 0556090D
	v_fma_f32 v86, v14, v4, v86                                // 00000000625C: D1CB0056 055A090E
	v_fma_f32 v87, v15, v4, v87                                // 000000006264: D1CB0057 055E090F
	v_mfma_f32_16x16x32_fp8_fp8 v[12:15], a[152:153], a[16:17], 0// 00000000626C: D3F3000C 1A022198
	v_mfma_f32_16x16x32_fp8_fp8 v[12:15], a[154:155], a[18:19], v[12:15]// 000000006274: D3F3000C 1C32259A
	buffer_load_dword v34, v30, s[28:31], 0 offen              // 00000000627C: E0501000 8007221E
	v_mfma_f32_16x16x32_fp8_fp8 v[12:15], a[156:157], a[20:21], v[12:15]// 000000006284: D3F3000C 1C32299C
	v_mfma_f32_16x16x32_fp8_fp8 v[12:15], a[158:159], a[22:23], v[12:15]// 00000000628C: D3F3000C 1C322D9E
	buffer_load_dword v35, v31, s[28:31], 0 offen              // 000000006294: E0501000 8007231F
	v_fma_f32 v100, v8, v6, v100                               // 00000000629C: D1CB0064 05920D08
	v_fma_f32 v101, v9, v6, v101                               // 0000000062A4: D1CB0065 05960D09
	v_fma_f32 v102, v10, v6, v102                              // 0000000062AC: D1CB0066 059A0D0A
	v_fma_f32 v103, v11, v6, v103                              // 0000000062B4: D1CB0067 059E0D0B
	v_mul_f32_dpp v4, v25, v41 row_newbcast:0 row_mask:0xf bank_mask:0xf// 0000000062BC: 0A0852FA FF015019
	v_mfma_f32_16x16x32_fp8_fp8 v[8:11], a[128:129], a[24:25], 0// 0000000062C4: D3F30008 1A023180
	v_mfma_f32_16x16x32_fp8_fp8 v[8:11], a[130:131], a[26:27], v[8:11]// 0000000062CC: D3F30008 1C223582
	buffer_load_dword v36, v32, s[28:31], 0 offen              // 0000000062D4: E0501000 80072420
	v_mfma_f32_16x16x32_fp8_fp8 v[8:11], a[132:133], a[28:29], v[8:11]// 0000000062DC: D3F30008 1C223984
	v_mfma_f32_16x16x32_fp8_fp8 v[8:11], a[134:135], a[30:31], v[8:11]// 0000000062E4: D3F30008 1C223D86
	buffer_load_dword v37, v33, s[28:31], 0 offen              // 0000000062EC: E0501000 80072521
	v_fma_f32 v116, v12, v6, v116                              // 0000000062F4: D1CB0074 05D20D0C
	v_fma_f32 v117, v13, v6, v117                              // 0000000062FC: D1CB0075 05D60D0D
	v_fma_f32 v118, v14, v6, v118                              // 000000006304: D1CB0076 05DA0D0E
	v_fma_f32 v119, v15, v6, v119                              // 00000000630C: D1CB0077 05DE0D0F
	v_mfma_f32_16x16x32_fp8_fp8 v[12:15], a[136:137], a[24:25], 0// 000000006314: D3F3000C 1A023188
	v_mfma_f32_16x16x32_fp8_fp8 v[12:15], a[138:139], a[26:27], v[12:15]// 00000000631C: D3F3000C 1C32358A
	v_mfma_f32_16x16x32_fp8_fp8 v[12:15], a[140:141], a[28:29], v[12:15]// 000000006324: D3F3000C 1C32398C
	v_mfma_f32_16x16x32_fp8_fp8 v[12:15], a[142:143], a[30:31], v[12:15]// 00000000632C: D3F3000C 1C323D8E
	v_fma_f32 v72, v8, v4, v72                                 // 000000006334: D1CB0048 05220908
	v_fma_f32 v73, v9, v4, v73                                 // 00000000633C: D1CB0049 05260909
	v_fma_f32 v74, v10, v4, v74                                // 000000006344: D1CB004A 052A090A
	v_fma_f32 v75, v11, v4, v75                                // 00000000634C: D1CB004B 052E090B
	v_mul_f32_dpp v6, v25, v41 row_newbcast:1 row_mask:0xf bank_mask:0xf// 000000006354: 0A0C52FA FF015119
	v_mfma_f32_16x16x32_fp8_fp8 v[8:11], a[144:145], a[24:25], 0// 00000000635C: D3F30008 1A023190
	v_mfma_f32_16x16x32_fp8_fp8 v[8:11], a[146:147], a[26:27], v[8:11]// 000000006364: D3F30008 1C223592
	v_mfma_f32_16x16x32_fp8_fp8 v[8:11], a[148:149], a[28:29], v[8:11]// 00000000636C: D3F30008 1C223994
	v_mfma_f32_16x16x32_fp8_fp8 v[8:11], a[150:151], a[30:31], v[8:11]// 000000006374: D3F30008 1C223D96
	v_fma_f32 v88, v12, v4, v88                                // 00000000637C: D1CB0058 0562090C
	v_fma_f32 v89, v13, v4, v89                                // 000000006384: D1CB0059 0566090D
	v_fma_f32 v90, v14, v4, v90                                // 00000000638C: D1CB005A 056A090E
	v_fma_f32 v91, v15, v4, v91                                // 000000006394: D1CB005B 056E090F
	v_mfma_f32_16x16x32_fp8_fp8 v[12:15], a[152:153], a[24:25], 0// 00000000639C: D3F3000C 1A023198
	v_mfma_f32_16x16x32_fp8_fp8 v[12:15], a[154:155], a[26:27], v[12:15]// 0000000063A4: D3F3000C 1C32359A
	v_mfma_f32_16x16x32_fp8_fp8 v[12:15], a[156:157], a[28:29], v[12:15]// 0000000063AC: D3F3000C 1C32399C
	v_mfma_f32_16x16x32_fp8_fp8 v[12:15], a[158:159], a[30:31], v[12:15]// 0000000063B4: D3F3000C 1C323D9E
	v_fma_f32 v104, v8, v6, v104                               // 0000000063BC: D1CB0068 05A20D08
	v_fma_f32 v105, v9, v6, v105                               // 0000000063C4: D1CB0069 05A60D09
	v_fma_f32 v106, v10, v6, v106                              // 0000000063CC: D1CB006A 05AA0D0A
	v_fma_f32 v107, v11, v6, v107                              // 0000000063D4: D1CB006B 05AE0D0B
	v_fma_f32 v120, v12, v6, v120                              // 0000000063DC: D1CB0078 05E20D0C
	v_fma_f32 v121, v13, v6, v121                              // 0000000063E4: D1CB0079 05E60D0D
	v_fma_f32 v122, v14, v6, v122                              // 0000000063EC: D1CB007A 05EA0D0E
	v_fma_f32 v123, v15, v6, v123                              // 0000000063F4: D1CB007B 05EE0D0F
	s_waitcnt vmcnt(21)                                        // 0000000063FC: BF8C4F75
	s_barrier                                                  // 000000006400: BF8A0000
	v_mul_f32_dpp v4, v28, v38 row_newbcast:0 row_mask:0xf bank_mask:0xf// 000000006404: 0A084CFA FF01501C
	v_mfma_f32_16x16x32_fp8_fp8 v[8:11], a[64:65], a[0:1], 0   // 00000000640C: D3F30008 1A020140
	buffer_load_dword v29, v23, s[32:35], 0 offen              // 000000006414: E0501000 80081D17
	v_mfma_f32_16x16x32_fp8_fp8 v[8:11], a[66:67], a[2:3], v[8:11]// 00000000641C: D3F30008 1C220542
	buffer_load_dwordx4 a[128:131], v54, s[84:87], 0 offen     // 000000006424: E05C1000 80958036
	v_mfma_f32_16x16x32_fp8_fp8 v[8:11], a[68:69], a[4:5], v[8:11]// 00000000642C: D3F30008 1C220944
	v_mfma_f32_16x16x32_fp8_fp8 v[8:11], a[70:71], a[6:7], v[8:11]// 000000006434: D3F30008 1C220D46
	ds_read_b128 a[32:35], v2 offset:16640                     // 00000000643C: DBFE4100 20000002
	ds_read_b128 a[36:39], v2 offset:16704                     // 000000006444: DBFE4140 24000002
	v_mfma_f32_16x16x32_fp8_fp8 v[12:15], a[72:73], a[0:1], 0  // 00000000644C: D3F3000C 1A020148
	v_mfma_f32_16x16x32_fp8_fp8 v[12:15], a[74:75], a[2:3], v[12:15]// 000000006454: D3F3000C 1C32054A
	buffer_load_dwordx4 a[132:135], v54, s[84:87], 0 offen offset:1024// 00000000645C: E05C1400 80958436
	v_mfma_f32_16x16x32_fp8_fp8 v[12:15], a[76:77], a[4:5], v[12:15]// 000000006464: D3F3000C 1C32094C
	v_mfma_f32_16x16x32_fp8_fp8 v[12:15], a[78:79], a[6:7], v[12:15]// 00000000646C: D3F3000C 1C320D4E
	ds_read_b128 a[40:43], v2 offset:17152                     // 000000006474: DBFE4300 28000002
	ds_read_b128 a[44:47], v2 offset:17216                     // 00000000647C: DBFE4340 2C000002
	v_fma_f32 v124, v8, v4, v124                               // 000000006484: D1CB007C 05F20908
	v_fma_f32 v125, v9, v4, v125                               // 00000000648C: D1CB007D 05F60909
	v_fma_f32 v126, v10, v4, v126                              // 000000006494: D1CB007E 05FA090A
	v_fma_f32 v127, v11, v4, v127                              // 00000000649C: D1CB007F 05FE090B
	v_mul_f32_dpp v6, v28, v38 row_newbcast:1 row_mask:0xf bank_mask:0xf// 0000000064A4: 0A0C4CFA FF01511C
	v_mfma_f32_16x16x32_fp8_fp8 v[8:11], a[80:81], a[0:1], 0   // 0000000064AC: D3F30008 1A020150
	v_mfma_f32_16x16x32_fp8_fp8 v[8:11], a[82:83], a[2:3], v[8:11]// 0000000064B4: D3F30008 1C220552
	buffer_load_dwordx4 a[136:139], v55, s[84:87], 0 offen     // 0000000064BC: E05C1000 80958837
	v_mfma_f32_16x16x32_fp8_fp8 v[8:11], a[84:85], a[4:5], v[8:11]// 0000000064C4: D3F30008 1C220954
	v_mfma_f32_16x16x32_fp8_fp8 v[8:11], a[86:87], a[6:7], v[8:11]// 0000000064CC: D3F30008 1C220D56
	ds_read_b128 a[48:51], v2 offset:17664                     // 0000000064D4: DBFE4500 30000002
	ds_read_b128 a[52:55], v2 offset:17728                     // 0000000064DC: DBFE4540 34000002
	v_fma_f32 v140, v12, v4, v140                              // 0000000064E4: D1CB008C 0632090C
	v_fma_f32 v141, v13, v4, v141                              // 0000000064EC: D1CB008D 0636090D
	v_fma_f32 v142, v14, v4, v142                              // 0000000064F4: D1CB008E 063A090E
	v_fma_f32 v143, v15, v4, v143                              // 0000000064FC: D1CB008F 063E090F
	v_mfma_f32_16x16x32_fp8_fp8 v[12:15], a[88:89], a[0:1], 0  // 000000006504: D3F3000C 1A020158
	v_mfma_f32_16x16x32_fp8_fp8 v[12:15], a[90:91], a[2:3], v[12:15]// 00000000650C: D3F3000C 1C32055A
	buffer_load_dwordx4 a[140:143], v55, s[84:87], 0 offen offset:1024// 000000006514: E05C1400 80958C37
	v_mfma_f32_16x16x32_fp8_fp8 v[12:15], a[92:93], a[4:5], v[12:15]// 00000000651C: D3F3000C 1C32095C
	v_mfma_f32_16x16x32_fp8_fp8 v[12:15], a[94:95], a[6:7], v[12:15]// 000000006524: D3F3000C 1C320D5E
	ds_read_b128 a[56:59], v2 offset:18176                     // 00000000652C: DBFE4700 38000002
	ds_read_b128 a[60:63], v2 offset:18240                     // 000000006534: DBFE4740 3C000002
	v_fma_f32 v156, v8, v6, v156                               // 00000000653C: D1CB009C 06720D08
	v_fma_f32 v157, v9, v6, v157                               // 000000006544: D1CB009D 06760D09
	v_fma_f32 v158, v10, v6, v158                              // 00000000654C: D1CB009E 067A0D0A
	v_fma_f32 v159, v11, v6, v159                              // 000000006554: D1CB009F 067E0D0B
	v_mul_f32_dpp v4, v28, v39 row_newbcast:0 row_mask:0xf bank_mask:0xf// 00000000655C: 0A084EFA FF01501C
	v_mfma_f32_16x16x32_fp8_fp8 v[8:11], a[64:65], a[8:9], 0   // 000000006564: D3F30008 1A021140
	v_mfma_f32_16x16x32_fp8_fp8 v[8:11], a[66:67], a[10:11], v[8:11]// 00000000656C: D3F30008 1C221542
	buffer_load_dwordx4 a[144:147], v56, s[84:87], 0 offen     // 000000006574: E05C1000 80959038
	v_mfma_f32_16x16x32_fp8_fp8 v[8:11], a[68:69], a[12:13], v[8:11]// 00000000657C: D3F30008 1C221944
	v_mfma_f32_16x16x32_fp8_fp8 v[8:11], a[70:71], a[14:15], v[8:11]// 000000006584: D3F30008 1C221D46
	v_fma_f32 v172, v12, v6, v172                              // 00000000658C: D1CB00AC 06B20D0C
	v_fma_f32 v173, v13, v6, v173                              // 000000006594: D1CB00AD 06B60D0D
	v_fma_f32 v174, v14, v6, v174                              // 00000000659C: D1CB00AE 06BA0D0E
	v_fma_f32 v175, v15, v6, v175                              // 0000000065A4: D1CB00AF 06BE0D0F
	v_mfma_f32_16x16x32_fp8_fp8 v[12:15], a[72:73], a[8:9], 0  // 0000000065AC: D3F3000C 1A021148
	v_mfma_f32_16x16x32_fp8_fp8 v[12:15], a[74:75], a[10:11], v[12:15]// 0000000065B4: D3F3000C 1C32154A
	buffer_load_dwordx4 a[148:151], v56, s[84:87], 0 offen offset:1024// 0000000065BC: E05C1400 80959438
	v_mfma_f32_16x16x32_fp8_fp8 v[12:15], a[76:77], a[12:13], v[12:15]// 0000000065C4: D3F3000C 1C32194C
	v_mfma_f32_16x16x32_fp8_fp8 v[12:15], a[78:79], a[14:15], v[12:15]// 0000000065CC: D3F3000C 1C321D4E
	v_fma_f32 v128, v8, v4, v128                               // 0000000065D4: D1CB0080 06020908
	v_fma_f32 v129, v9, v4, v129                               // 0000000065DC: D1CB0081 06060909
	v_fma_f32 v130, v10, v4, v130                              // 0000000065E4: D1CB0082 060A090A
	v_fma_f32 v131, v11, v4, v131                              // 0000000065EC: D1CB0083 060E090B
	v_mul_f32_dpp v6, v28, v39 row_newbcast:1 row_mask:0xf bank_mask:0xf// 0000000065F4: 0A0C4EFA FF01511C
	v_mfma_f32_16x16x32_fp8_fp8 v[8:11], a[80:81], a[8:9], 0   // 0000000065FC: D3F30008 1A021150
	v_mfma_f32_16x16x32_fp8_fp8 v[8:11], a[82:83], a[10:11], v[8:11]// 000000006604: D3F30008 1C221552
	buffer_load_dwordx4 a[152:155], v57, s[84:87], 0 offen     // 00000000660C: E05C1000 80959839
	v_mfma_f32_16x16x32_fp8_fp8 v[8:11], a[84:85], a[12:13], v[8:11]// 000000006614: D3F30008 1C221954
	v_mfma_f32_16x16x32_fp8_fp8 v[8:11], a[86:87], a[14:15], v[8:11]// 00000000661C: D3F30008 1C221D56
	v_fma_f32 v144, v12, v4, v144                              // 000000006624: D1CB0090 0642090C
	v_fma_f32 v145, v13, v4, v145                              // 00000000662C: D1CB0091 0646090D
	v_fma_f32 v146, v14, v4, v146                              // 000000006634: D1CB0092 064A090E
	v_fma_f32 v147, v15, v4, v147                              // 00000000663C: D1CB0093 064E090F
	v_mfma_f32_16x16x32_fp8_fp8 v[12:15], a[88:89], a[8:9], 0  // 000000006644: D3F3000C 1A021158
	v_mfma_f32_16x16x32_fp8_fp8 v[12:15], a[90:91], a[10:11], v[12:15]// 00000000664C: D3F3000C 1C32155A
	buffer_load_dwordx4 a[156:159], v57, s[84:87], 0 offen offset:1024// 000000006654: E05C1400 80959C39
	v_mfma_f32_16x16x32_fp8_fp8 v[12:15], a[92:93], a[12:13], v[12:15]// 00000000665C: D3F3000C 1C32195C
	v_mfma_f32_16x16x32_fp8_fp8 v[12:15], a[94:95], a[14:15], v[12:15]// 000000006664: D3F3000C 1C321D5E
	v_fma_f32 v160, v8, v6, v160                               // 00000000666C: D1CB00A0 06820D08
	v_fma_f32 v161, v9, v6, v161                               // 000000006674: D1CB00A1 06860D09
	v_fma_f32 v162, v10, v6, v162                              // 00000000667C: D1CB00A2 068A0D0A
	v_fma_f32 v163, v11, v6, v163                              // 000000006684: D1CB00A3 068E0D0B
	v_mul_f32_dpp v4, v28, v40 row_newbcast:0 row_mask:0xf bank_mask:0xf// 00000000668C: 0A0850FA FF01501C
	v_mfma_f32_16x16x32_fp8_fp8 v[8:11], a[64:65], a[16:17], 0 // 000000006694: D3F30008 1A022140
	v_mfma_f32_16x16x32_fp8_fp8 v[8:11], a[66:67], a[18:19], v[8:11]// 00000000669C: D3F30008 1C222542
	v_mfma_f32_16x16x32_fp8_fp8 v[8:11], a[68:69], a[20:21], v[8:11]// 0000000066A4: D3F30008 1C222944
	v_mfma_f32_16x16x32_fp8_fp8 v[8:11], a[70:71], a[22:23], v[8:11]// 0000000066AC: D3F30008 1C222D46
	v_fma_f32 v176, v12, v6, v176                              // 0000000066B4: D1CB00B0 06C20D0C
	v_fma_f32 v177, v13, v6, v177                              // 0000000066BC: D1CB00B1 06C60D0D
	v_fma_f32 v178, v14, v6, v178                              // 0000000066C4: D1CB00B2 06CA0D0E
	v_fma_f32 v179, v15, v6, v179                              // 0000000066CC: D1CB00B3 06CE0D0F
	v_mfma_f32_16x16x32_fp8_fp8 v[12:15], a[72:73], a[16:17], 0// 0000000066D4: D3F3000C 1A022148
	v_mfma_f32_16x16x32_fp8_fp8 v[12:15], a[74:75], a[18:19], v[12:15]// 0000000066DC: D3F3000C 1C32254A
	v_mfma_f32_16x16x32_fp8_fp8 v[12:15], a[76:77], a[20:21], v[12:15]// 0000000066E4: D3F3000C 1C32294C
	v_mfma_f32_16x16x32_fp8_fp8 v[12:15], a[78:79], a[22:23], v[12:15]// 0000000066EC: D3F3000C 1C322D4E
	v_fma_f32 v132, v8, v4, v132                               // 0000000066F4: D1CB0084 06120908
	v_fma_f32 v133, v9, v4, v133                               // 0000000066FC: D1CB0085 06160909
	v_fma_f32 v134, v10, v4, v134                              // 000000006704: D1CB0086 061A090A
	v_fma_f32 v135, v11, v4, v135                              // 00000000670C: D1CB0087 061E090B
	v_mul_f32_dpp v6, v28, v40 row_newbcast:1 row_mask:0xf bank_mask:0xf// 000000006714: 0A0C50FA FF01511C
	v_mfma_f32_16x16x32_fp8_fp8 v[8:11], a[80:81], a[16:17], 0 // 00000000671C: D3F30008 1A022150
	v_mfma_f32_16x16x32_fp8_fp8 v[8:11], a[82:83], a[18:19], v[8:11]// 000000006724: D3F30008 1C222552
	v_mfma_f32_16x16x32_fp8_fp8 v[8:11], a[84:85], a[20:21], v[8:11]// 00000000672C: D3F30008 1C222954
	v_mfma_f32_16x16x32_fp8_fp8 v[8:11], a[86:87], a[22:23], v[8:11]// 000000006734: D3F30008 1C222D56
	v_fma_f32 v148, v12, v4, v148                              // 00000000673C: D1CB0094 0652090C
	v_fma_f32 v149, v13, v4, v149                              // 000000006744: D1CB0095 0656090D
	v_fma_f32 v150, v14, v4, v150                              // 00000000674C: D1CB0096 065A090E
	v_fma_f32 v151, v15, v4, v151                              // 000000006754: D1CB0097 065E090F
	v_mfma_f32_16x16x32_fp8_fp8 v[12:15], a[88:89], a[16:17], 0// 00000000675C: D3F3000C 1A022158
	v_mfma_f32_16x16x32_fp8_fp8 v[12:15], a[90:91], a[18:19], v[12:15]// 000000006764: D3F3000C 1C32255A
	v_mfma_f32_16x16x32_fp8_fp8 v[12:15], a[92:93], a[20:21], v[12:15]// 00000000676C: D3F3000C 1C32295C
	v_mfma_f32_16x16x32_fp8_fp8 v[12:15], a[94:95], a[22:23], v[12:15]// 000000006774: D3F3000C 1C322D5E
	v_fma_f32 v164, v8, v6, v164                               // 00000000677C: D1CB00A4 06920D08
	v_fma_f32 v165, v9, v6, v165                               // 000000006784: D1CB00A5 06960D09
	v_fma_f32 v166, v10, v6, v166                              // 00000000678C: D1CB00A6 069A0D0A
	v_fma_f32 v167, v11, v6, v167                              // 000000006794: D1CB00A7 069E0D0B
	v_mul_f32_dpp v4, v28, v41 row_newbcast:0 row_mask:0xf bank_mask:0xf// 00000000679C: 0A0852FA FF01501C
	v_mfma_f32_16x16x32_fp8_fp8 v[8:11], a[64:65], a[24:25], 0 // 0000000067A4: D3F30008 1A023140
	v_mfma_f32_16x16x32_fp8_fp8 v[8:11], a[66:67], a[26:27], v[8:11]// 0000000067AC: D3F30008 1C223542
	v_mfma_f32_16x16x32_fp8_fp8 v[8:11], a[68:69], a[28:29], v[8:11]// 0000000067B4: D3F30008 1C223944
	v_mfma_f32_16x16x32_fp8_fp8 v[8:11], a[70:71], a[30:31], v[8:11]// 0000000067BC: D3F30008 1C223D46
	v_fma_f32 v180, v12, v6, v180                              // 0000000067C4: D1CB00B4 06D20D0C
	v_fma_f32 v181, v13, v6, v181                              // 0000000067CC: D1CB00B5 06D60D0D
	v_fma_f32 v182, v14, v6, v182                              // 0000000067D4: D1CB00B6 06DA0D0E
	v_fma_f32 v183, v15, v6, v183                              // 0000000067DC: D1CB00B7 06DE0D0F
	v_mfma_f32_16x16x32_fp8_fp8 v[12:15], a[72:73], a[24:25], 0// 0000000067E4: D3F3000C 1A023148
	v_mfma_f32_16x16x32_fp8_fp8 v[12:15], a[74:75], a[26:27], v[12:15]// 0000000067EC: D3F3000C 1C32354A
	v_mfma_f32_16x16x32_fp8_fp8 v[12:15], a[76:77], a[28:29], v[12:15]// 0000000067F4: D3F3000C 1C32394C
	v_mfma_f32_16x16x32_fp8_fp8 v[12:15], a[78:79], a[30:31], v[12:15]// 0000000067FC: D3F3000C 1C323D4E
	v_fma_f32 v136, v8, v4, v136                               // 000000006804: D1CB0088 06220908
	v_fma_f32 v137, v9, v4, v137                               // 00000000680C: D1CB0089 06260909
	v_fma_f32 v138, v10, v4, v138                              // 000000006814: D1CB008A 062A090A
	v_fma_f32 v139, v11, v4, v139                              // 00000000681C: D1CB008B 062E090B
	v_mul_f32_dpp v6, v28, v41 row_newbcast:1 row_mask:0xf bank_mask:0xf// 000000006824: 0A0C52FA FF01511C
	v_mfma_f32_16x16x32_fp8_fp8 v[8:11], a[80:81], a[24:25], 0 // 00000000682C: D3F30008 1A023150
	s_add_u32 s60, 0x180, s80                                  // 000000006834: 803C50FF 00000180
	s_cmp_lt_u32 s60, s81                                      // 00000000683C: BF0A513C
	s_cselect_b32 s57, s57, 0                                  // 000000006840: 85398039
	s_cselect_b32 s3, s3, 0                                    // 000000006844: 85038003
	v_mfma_f32_16x16x32_fp8_fp8 v[8:11], a[82:83], a[26:27], v[8:11]// 000000006848: D3F30008 1C223552
	s_add_u32 s60, 0x100, s80                                  // 000000006850: 803C50FF 00000100
	s_cmp_lt_u32 s60, s81                                      // 000000006858: BF0A513C
	s_cselect_b32 s58, s58, 0                                  // 00000000685C: 853A803A
	v_mfma_f32_16x16x32_fp8_fp8 v[8:11], a[84:85], a[28:29], v[8:11]// 000000006860: D3F30008 1C223954
	s_add_u32 s60, 0x100, s80                                  // 000000006868: 803C50FF 00000100
	s_cmp_lt_u32 s60, s81                                      // 000000006870: BF0A513C
	s_cselect_b32 s83, s83, 0                                  // 000000006874: 85538053
	s_cselect_b32 s4, s4, 0                                    // 000000006878: 85048004
	v_mfma_f32_16x16x32_fp8_fp8 v[8:11], a[86:87], a[30:31], v[8:11]// 00000000687C: D3F30008 1C223D56
	s_add_u32 s24, s58, s24                                    // 000000006884: 8018183A
	s_addc_u32 s25, 0, s25                                     // 000000006888: 82191980
	v_fma_f32 v152, v12, v4, v152                              // 00000000688C: D1CB0098 0662090C
	v_fma_f32 v153, v13, v4, v153                              // 000000006894: D1CB0099 0666090D
	v_fma_f32 v154, v14, v4, v154                              // 00000000689C: D1CB009A 066A090E
	v_fma_f32 v155, v15, v4, v155                              // 0000000068A4: D1CB009B 066E090F
	v_mfma_f32_16x16x32_fp8_fp8 v[12:15], a[88:89], a[24:25], 0// 0000000068AC: D3F3000C 1A023158
	s_add_u32 s20, s57, s20                                    // 0000000068B4: 80141439
	s_addc_u32 s21, 0, s21                                     // 0000000068B8: 82151580
	s_add_u32 s28, s3, s28                                     // 0000000068BC: 801C1C03
	s_addc_u32 s29, 0, s29                                     // 0000000068C0: 821D1D80
	v_mfma_f32_16x16x32_fp8_fp8 v[12:15], a[90:91], a[26:27], v[12:15]// 0000000068C4: D3F3000C 1C32355A
	s_add_u32 s84, s83, s84                                    // 0000000068CC: 80545453
	s_addc_u32 s85, 0, s85                                     // 0000000068D0: 82555580
	v_mfma_f32_16x16x32_fp8_fp8 v[12:15], a[92:93], a[28:29], v[12:15]// 0000000068D4: D3F3000C 1C32395C
	s_add_u32 s32, s4, s32                                     // 0000000068DC: 80202004
	s_addc_u32 s33, 0, s33                                     // 0000000068E0: 82212180
	v_mfma_f32_16x16x32_fp8_fp8 v[12:15], a[94:95], a[30:31], v[12:15]// 0000000068E4: D3F3000C 1C323D5E
	v_fma_f32 v168, v8, v6, v168                               // 0000000068EC: D1CB00A8 06A20D08
	v_fma_f32 v169, v9, v6, v169                               // 0000000068F4: D1CB00A9 06A60D09
	v_fma_f32 v170, v10, v6, v170                              // 0000000068FC: D1CB00AA 06AA0D0A
	v_fma_f32 v171, v11, v6, v171                              // 000000006904: D1CB00AB 06AE0D0B
	v_fma_f32 v184, v12, v6, v184                              // 00000000690C: D1CB00B8 06E20D0C
	v_fma_f32 v185, v13, v6, v185                              // 000000006914: D1CB00B9 06E60D0D
	v_fma_f32 v186, v14, v6, v186                              // 00000000691C: D1CB00BA 06EA0D0E
	v_fma_f32 v187, v15, v6, v187                              // 000000006924: D1CB00BB 06EE0D0F
	s_addk_i32 s80, 0x80                                       // 00000000692C: B7500080
	s_cmp_lt_i32 s80, s81                                      // 000000006930: BF045150
	s_cbranch_scc0 label_1268                                  // 000000006934: BF84029A
	s_waitcnt vmcnt(21) lgkmcnt(0)                             // 000000006938: BF8C4075
	v_mul_f32_dpp v4, v26, v42 row_newbcast:0 row_mask:0xf bank_mask:0xf// 00000000693C: 0A0854FA FF01501A
	v_mfma_f32_16x16x32_fp8_fp8 v[8:11], a[96:97], a[32:33], 0 // 000000006944: D3F30008 1A024160
	buffer_load_dword v24, v22, s[32:35], 0 offen              // 00000000694C: E0501000 80081816
	v_mfma_f32_16x16x32_fp8_fp8 v[8:11], a[98:99], a[34:35], v[8:11]// 000000006954: D3F30008 1C224562
	buffer_load_dwordx4 a[64:67], v54, s[24:27], 0 offen       // 00000000695C: E05C1000 80864036
	v_mfma_f32_16x16x32_fp8_fp8 v[8:11], a[100:101], a[36:37], v[8:11]// 000000006964: D3F30008 1C224964
	v_mfma_f32_16x16x32_fp8_fp8 v[8:11], a[102:103], a[38:39], v[8:11]// 00000000696C: D3F30008 1C224D66
	v_mfma_f32_16x16x32_fp8_fp8 v[12:15], a[104:105], a[32:33], 0// 000000006974: D3F3000C 1A024168
	v_mfma_f32_16x16x32_fp8_fp8 v[12:15], a[106:107], a[34:35], v[12:15]// 00000000697C: D3F3000C 1C32456A
	buffer_load_dwordx4 a[68:71], v54, s[24:27], 0 offen offset:1024// 000000006984: E05C1400 80864436
	v_mfma_f32_16x16x32_fp8_fp8 v[12:15], a[108:109], a[36:37], v[12:15]// 00000000698C: D3F3000C 1C32496C
	v_mfma_f32_16x16x32_fp8_fp8 v[12:15], a[110:111], a[38:39], v[12:15]// 000000006994: D3F3000C 1C324D6E
	v_fma_f32 v60, v8, v4, v60                                 // 00000000699C: D1CB003C 04F20908
	v_fma_f32 v61, v9, v4, v61                                 // 0000000069A4: D1CB003D 04F60909
	v_fma_f32 v62, v10, v4, v62                                // 0000000069AC: D1CB003E 04FA090A
	v_fma_f32 v63, v11, v4, v63                                // 0000000069B4: D1CB003F 04FE090B
	v_mul_f32_dpp v6, v26, v42 row_newbcast:1 row_mask:0xf bank_mask:0xf// 0000000069BC: 0A0C54FA FF01511A
	v_mfma_f32_16x16x32_fp8_fp8 v[8:11], a[112:113], a[32:33], 0// 0000000069C4: D3F30008 1A024170
	v_mfma_f32_16x16x32_fp8_fp8 v[8:11], a[114:115], a[34:35], v[8:11]// 0000000069CC: D3F30008 1C224572
	buffer_load_dwordx4 a[72:75], v55, s[24:27], 0 offen       // 0000000069D4: E05C1000 80864837
	v_mfma_f32_16x16x32_fp8_fp8 v[8:11], a[116:117], a[36:37], v[8:11]// 0000000069DC: D3F30008 1C224974
	v_mfma_f32_16x16x32_fp8_fp8 v[8:11], a[118:119], a[38:39], v[8:11]// 0000000069E4: D3F30008 1C224D76
	v_fma_f32 v76, v12, v4, v76                                // 0000000069EC: D1CB004C 0532090C
	v_fma_f32 v77, v13, v4, v77                                // 0000000069F4: D1CB004D 0536090D
	v_fma_f32 v78, v14, v4, v78                                // 0000000069FC: D1CB004E 053A090E
	v_fma_f32 v79, v15, v4, v79                                // 000000006A04: D1CB004F 053E090F
	v_mfma_f32_16x16x32_fp8_fp8 v[12:15], a[120:121], a[32:33], 0// 000000006A0C: D3F3000C 1A024178
	v_mfma_f32_16x16x32_fp8_fp8 v[12:15], a[122:123], a[34:35], v[12:15]// 000000006A14: D3F3000C 1C32457A
	buffer_load_dwordx4 a[76:79], v55, s[24:27], 0 offen offset:1024// 000000006A1C: E05C1400 80864C37
	v_mfma_f32_16x16x32_fp8_fp8 v[12:15], a[124:125], a[36:37], v[12:15]// 000000006A24: D3F3000C 1C32497C
	v_mfma_f32_16x16x32_fp8_fp8 v[12:15], a[126:127], a[38:39], v[12:15]// 000000006A2C: D3F3000C 1C324D7E
	v_fma_f32 v92, v8, v6, v92                                 // 000000006A34: D1CB005C 05720D08
	v_fma_f32 v93, v9, v6, v93                                 // 000000006A3C: D1CB005D 05760D09
	v_fma_f32 v94, v10, v6, v94                                // 000000006A44: D1CB005E 057A0D0A
	v_fma_f32 v95, v11, v6, v95                                // 000000006A4C: D1CB005F 057E0D0B
	v_mul_f32_dpp v4, v26, v43 row_newbcast:0 row_mask:0xf bank_mask:0xf// 000000006A54: 0A0856FA FF01501A
	v_mfma_f32_16x16x32_fp8_fp8 v[8:11], a[96:97], a[40:41], 0 // 000000006A5C: D3F30008 1A025160
	v_mfma_f32_16x16x32_fp8_fp8 v[8:11], a[98:99], a[42:43], v[8:11]// 000000006A64: D3F30008 1C225562
	buffer_load_dwordx4 a[80:83], v56, s[24:27], 0 offen       // 000000006A6C: E05C1000 80865038
	v_mfma_f32_16x16x32_fp8_fp8 v[8:11], a[100:101], a[44:45], v[8:11]// 000000006A74: D3F30008 1C225964
	v_mfma_f32_16x16x32_fp8_fp8 v[8:11], a[102:103], a[46:47], v[8:11]// 000000006A7C: D3F30008 1C225D66
	v_fma_f32 v108, v12, v6, v108                              // 000000006A84: D1CB006C 05B20D0C
	v_fma_f32 v109, v13, v6, v109                              // 000000006A8C: D1CB006D 05B60D0D
	v_fma_f32 v110, v14, v6, v110                              // 000000006A94: D1CB006E 05BA0D0E
	v_fma_f32 v111, v15, v6, v111                              // 000000006A9C: D1CB006F 05BE0D0F
	v_mfma_f32_16x16x32_fp8_fp8 v[12:15], a[104:105], a[40:41], 0// 000000006AA4: D3F3000C 1A025168
	v_mfma_f32_16x16x32_fp8_fp8 v[12:15], a[106:107], a[42:43], v[12:15]// 000000006AAC: D3F3000C 1C32556A
	buffer_load_dwordx4 a[84:87], v56, s[24:27], 0 offen offset:1024// 000000006AB4: E05C1400 80865438
	v_mfma_f32_16x16x32_fp8_fp8 v[12:15], a[108:109], a[44:45], v[12:15]// 000000006ABC: D3F3000C 1C32596C
	v_mfma_f32_16x16x32_fp8_fp8 v[12:15], a[110:111], a[46:47], v[12:15]// 000000006AC4: D3F3000C 1C325D6E
	v_fma_f32 v64, v8, v4, v64                                 // 000000006ACC: D1CB0040 05020908
	v_fma_f32 v65, v9, v4, v65                                 // 000000006AD4: D1CB0041 05060909
	v_fma_f32 v66, v10, v4, v66                                // 000000006ADC: D1CB0042 050A090A
	v_fma_f32 v67, v11, v4, v67                                // 000000006AE4: D1CB0043 050E090B
	v_mul_f32_dpp v6, v26, v43 row_newbcast:1 row_mask:0xf bank_mask:0xf// 000000006AEC: 0A0C56FA FF01511A
	v_mfma_f32_16x16x32_fp8_fp8 v[8:11], a[112:113], a[40:41], 0// 000000006AF4: D3F30008 1A025170
	v_mfma_f32_16x16x32_fp8_fp8 v[8:11], a[114:115], a[42:43], v[8:11]// 000000006AFC: D3F30008 1C225572
	buffer_load_dwordx4 a[88:91], v57, s[24:27], 0 offen       // 000000006B04: E05C1000 80865839
	v_mfma_f32_16x16x32_fp8_fp8 v[8:11], a[116:117], a[44:45], v[8:11]// 000000006B0C: D3F30008 1C225974
	v_mfma_f32_16x16x32_fp8_fp8 v[8:11], a[118:119], a[46:47], v[8:11]// 000000006B14: D3F30008 1C225D76
	v_fma_f32 v80, v12, v4, v80                                // 000000006B1C: D1CB0050 0542090C
	v_fma_f32 v81, v13, v4, v81                                // 000000006B24: D1CB0051 0546090D
	v_fma_f32 v82, v14, v4, v82                                // 000000006B2C: D1CB0052 054A090E
	v_fma_f32 v83, v15, v4, v83                                // 000000006B34: D1CB0053 054E090F
	v_mfma_f32_16x16x32_fp8_fp8 v[12:15], a[120:121], a[40:41], 0// 000000006B3C: D3F3000C 1A025178
	v_mfma_f32_16x16x32_fp8_fp8 v[12:15], a[122:123], a[42:43], v[12:15]// 000000006B44: D3F3000C 1C32557A
	buffer_load_dwordx4 a[92:95], v57, s[24:27], 0 offen offset:1024// 000000006B4C: E05C1400 80865C39
	buffer_load_dword v46, s[20:23], 0 offen lds               // 000000006B54: E0511000 8005002E
	s_add_u32 m0, 0x100, s49                                   // 000000006B5C: 807C31FF 00000100
	v_mfma_f32_16x16x32_fp8_fp8 v[12:15], a[124:125], a[44:45], v[12:15]// 000000006B64: D3F3000C 1C32597C
	v_mfma_f32_16x16x32_fp8_fp8 v[12:15], a[126:127], a[46:47], v[12:15]// 000000006B6C: D3F3000C 1C325D7E
	buffer_load_dword v47, s[20:23], 0 offen lds               // 000000006B74: E0511000 8005002F
	s_add_u32 m0, 0x200, s49                                   // 000000006B7C: 807C31FF 00000200
	v_fma_f32 v96, v8, v6, v96                                 // 000000006B84: D1CB0060 05820D08
	v_fma_f32 v97, v9, v6, v97                                 // 000000006B8C: D1CB0061 05860D09
	v_fma_f32 v98, v10, v6, v98                                // 000000006B94: D1CB0062 058A0D0A
	v_fma_f32 v99, v11, v6, v99                                // 000000006B9C: D1CB0063 058E0D0B
	v_mul_f32_dpp v4, v26, v44 row_newbcast:0 row_mask:0xf bank_mask:0xf// 000000006BA4: 0A0858FA FF01501A
	v_mfma_f32_16x16x32_fp8_fp8 v[8:11], a[96:97], a[48:49], 0 // 000000006BAC: D3F30008 1A026160
	v_mfma_f32_16x16x32_fp8_fp8 v[8:11], a[98:99], a[50:51], v[8:11]// 000000006BB4: D3F30008 1C226562
	buffer_load_dword v48, s[20:23], 0 offen lds               // 000000006BBC: E0511000 80050030
	s_add_u32 m0, 0x300, s49                                   // 000000006BC4: 807C31FF 00000300
	v_mfma_f32_16x16x32_fp8_fp8 v[8:11], a[100:101], a[52:53], v[8:11]// 000000006BCC: D3F30008 1C226964
	v_mfma_f32_16x16x32_fp8_fp8 v[8:11], a[102:103], a[54:55], v[8:11]// 000000006BD4: D3F30008 1C226D66
	buffer_load_dword v49, s[20:23], 0 offen lds               // 000000006BDC: E0511000 80050031
	s_add_u32 m0, 0x400, s49                                   // 000000006BE4: 807C31FF 00000400
	v_fma_f32 v112, v12, v6, v112                              // 000000006BEC: D1CB0070 05C20D0C
	v_fma_f32 v113, v13, v6, v113                              // 000000006BF4: D1CB0071 05C60D0D
	v_fma_f32 v114, v14, v6, v114                              // 000000006BFC: D1CB0072 05CA0D0E
	v_fma_f32 v115, v15, v6, v115                              // 000000006C04: D1CB0073 05CE0D0F
	v_mfma_f32_16x16x32_fp8_fp8 v[12:15], a[104:105], a[48:49], 0// 000000006C0C: D3F3000C 1A026168
	v_mfma_f32_16x16x32_fp8_fp8 v[12:15], a[106:107], a[50:51], v[12:15]// 000000006C14: D3F3000C 1C32656A
	buffer_load_dword v50, s[20:23], 0 offen lds               // 000000006C1C: E0511000 80050032
	s_add_u32 m0, 0x500, s49                                   // 000000006C24: 807C31FF 00000500
	v_mfma_f32_16x16x32_fp8_fp8 v[12:15], a[108:109], a[52:53], v[12:15]// 000000006C2C: D3F3000C 1C32696C
	v_mfma_f32_16x16x32_fp8_fp8 v[12:15], a[110:111], a[54:55], v[12:15]// 000000006C34: D3F3000C 1C326D6E
	buffer_load_dword v51, s[20:23], 0 offen lds               // 000000006C3C: E0511000 80050033
	s_add_u32 m0, 0x600, s49                                   // 000000006C44: 807C31FF 00000600
	v_fma_f32 v68, v8, v4, v68                                 // 000000006C4C: D1CB0044 05120908
	v_fma_f32 v69, v9, v4, v69                                 // 000000006C54: D1CB0045 05160909
	v_fma_f32 v70, v10, v4, v70                                // 000000006C5C: D1CB0046 051A090A
	v_fma_f32 v71, v11, v4, v71                                // 000000006C64: D1CB0047 051E090B
	v_mul_f32_dpp v6, v26, v44 row_newbcast:1 row_mask:0xf bank_mask:0xf// 000000006C6C: 0A0C58FA FF01511A
	v_mfma_f32_16x16x32_fp8_fp8 v[8:11], a[112:113], a[48:49], 0// 000000006C74: D3F30008 1A026170
	v_mfma_f32_16x16x32_fp8_fp8 v[8:11], a[114:115], a[50:51], v[8:11]// 000000006C7C: D3F30008 1C226572
	buffer_load_dword v52, s[20:23], 0 offen lds               // 000000006C84: E0511000 80050034
	s_add_u32 m0, 0x700, s49                                   // 000000006C8C: 807C31FF 00000700
	v_mfma_f32_16x16x32_fp8_fp8 v[8:11], a[116:117], a[52:53], v[8:11]// 000000006C94: D3F30008 1C226974
	v_mfma_f32_16x16x32_fp8_fp8 v[8:11], a[118:119], a[54:55], v[8:11]// 000000006C9C: D3F30008 1C226D76
	buffer_load_dword v53, s[20:23], 0 offen lds               // 000000006CA4: E0511000 80050035
	s_add_u32 m0, 0, s50                                       // 000000006CAC: 807C3280
	v_fma_f32 v84, v12, v4, v84                                // 000000006CB0: D1CB0054 0552090C
	v_fma_f32 v85, v13, v4, v85                                // 000000006CB8: D1CB0055 0556090D
	v_fma_f32 v86, v14, v4, v86                                // 000000006CC0: D1CB0056 055A090E
	v_fma_f32 v87, v15, v4, v87                                // 000000006CC8: D1CB0057 055E090F
	v_mfma_f32_16x16x32_fp8_fp8 v[12:15], a[120:121], a[48:49], 0// 000000006CD0: D3F3000C 1A026178
	v_mfma_f32_16x16x32_fp8_fp8 v[12:15], a[122:123], a[50:51], v[12:15]// 000000006CD8: D3F3000C 1C32657A
	buffer_load_dword v38, v30, s[28:31], 0 offen              // 000000006CE0: E0501000 8007261E
	v_mfma_f32_16x16x32_fp8_fp8 v[12:15], a[124:125], a[52:53], v[12:15]// 000000006CE8: D3F3000C 1C32697C
	v_mfma_f32_16x16x32_fp8_fp8 v[12:15], a[126:127], a[54:55], v[12:15]// 000000006CF0: D3F3000C 1C326D7E
	buffer_load_dword v39, v31, s[28:31], 0 offen              // 000000006CF8: E0501000 8007271F
	v_fma_f32 v100, v8, v6, v100                               // 000000006D00: D1CB0064 05920D08
	v_fma_f32 v101, v9, v6, v101                               // 000000006D08: D1CB0065 05960D09
	v_fma_f32 v102, v10, v6, v102                              // 000000006D10: D1CB0066 059A0D0A
	v_fma_f32 v103, v11, v6, v103                              // 000000006D18: D1CB0067 059E0D0B
	v_mul_f32_dpp v4, v26, v45 row_newbcast:0 row_mask:0xf bank_mask:0xf// 000000006D20: 0A085AFA FF01501A
	v_mfma_f32_16x16x32_fp8_fp8 v[8:11], a[96:97], a[56:57], 0 // 000000006D28: D3F30008 1A027160
	v_mfma_f32_16x16x32_fp8_fp8 v[8:11], a[98:99], a[58:59], v[8:11]// 000000006D30: D3F30008 1C227562
	buffer_load_dword v40, v32, s[28:31], 0 offen              // 000000006D38: E0501000 80072820
	v_mfma_f32_16x16x32_fp8_fp8 v[8:11], a[100:101], a[60:61], v[8:11]// 000000006D40: D3F30008 1C227964
	v_mfma_f32_16x16x32_fp8_fp8 v[8:11], a[102:103], a[62:63], v[8:11]// 000000006D48: D3F30008 1C227D66
	buffer_load_dword v41, v33, s[28:31], 0 offen              // 000000006D50: E0501000 80072921
	v_fma_f32 v116, v12, v6, v116                              // 000000006D58: D1CB0074 05D20D0C
	v_fma_f32 v117, v13, v6, v117                              // 000000006D60: D1CB0075 05D60D0D
	v_fma_f32 v118, v14, v6, v118                              // 000000006D68: D1CB0076 05DA0D0E
	v_fma_f32 v119, v15, v6, v119                              // 000000006D70: D1CB0077 05DE0D0F
	v_mfma_f32_16x16x32_fp8_fp8 v[12:15], a[104:105], a[56:57], 0// 000000006D78: D3F3000C 1A027168
	v_mfma_f32_16x16x32_fp8_fp8 v[12:15], a[106:107], a[58:59], v[12:15]// 000000006D80: D3F3000C 1C32756A
	v_mfma_f32_16x16x32_fp8_fp8 v[12:15], a[108:109], a[60:61], v[12:15]// 000000006D88: D3F3000C 1C32796C
	v_mfma_f32_16x16x32_fp8_fp8 v[12:15], a[110:111], a[62:63], v[12:15]// 000000006D90: D3F3000C 1C327D6E
	v_fma_f32 v72, v8, v4, v72                                 // 000000006D98: D1CB0048 05220908
	v_fma_f32 v73, v9, v4, v73                                 // 000000006DA0: D1CB0049 05260909
	v_fma_f32 v74, v10, v4, v74                                // 000000006DA8: D1CB004A 052A090A
	v_fma_f32 v75, v11, v4, v75                                // 000000006DB0: D1CB004B 052E090B
	v_mul_f32_dpp v6, v26, v45 row_newbcast:1 row_mask:0xf bank_mask:0xf// 000000006DB8: 0A0C5AFA FF01511A
	v_mfma_f32_16x16x32_fp8_fp8 v[8:11], a[112:113], a[56:57], 0// 000000006DC0: D3F30008 1A027170
	v_mfma_f32_16x16x32_fp8_fp8 v[8:11], a[114:115], a[58:59], v[8:11]// 000000006DC8: D3F30008 1C227572
	v_mfma_f32_16x16x32_fp8_fp8 v[8:11], a[116:117], a[60:61], v[8:11]// 000000006DD0: D3F30008 1C227974
	v_mfma_f32_16x16x32_fp8_fp8 v[8:11], a[118:119], a[62:63], v[8:11]// 000000006DD8: D3F30008 1C227D76
	v_fma_f32 v88, v12, v4, v88                                // 000000006DE0: D1CB0058 0562090C
	v_fma_f32 v89, v13, v4, v89                                // 000000006DE8: D1CB0059 0566090D
	v_fma_f32 v90, v14, v4, v90                                // 000000006DF0: D1CB005A 056A090E
	v_fma_f32 v91, v15, v4, v91                                // 000000006DF8: D1CB005B 056E090F
	v_mfma_f32_16x16x32_fp8_fp8 v[12:15], a[120:121], a[56:57], 0// 000000006E00: D3F3000C 1A027178
	v_mfma_f32_16x16x32_fp8_fp8 v[12:15], a[122:123], a[58:59], v[12:15]// 000000006E08: D3F3000C 1C32757A
	v_mfma_f32_16x16x32_fp8_fp8 v[12:15], a[124:125], a[60:61], v[12:15]// 000000006E10: D3F3000C 1C32797C
	v_mfma_f32_16x16x32_fp8_fp8 v[12:15], a[126:127], a[62:63], v[12:15]// 000000006E18: D3F3000C 1C327D7E
	v_fma_f32 v104, v8, v6, v104                               // 000000006E20: D1CB0068 05A20D08
	v_fma_f32 v105, v9, v6, v105                               // 000000006E28: D1CB0069 05A60D09
	v_fma_f32 v106, v10, v6, v106                              // 000000006E30: D1CB006A 05AA0D0A
	v_fma_f32 v107, v11, v6, v107                              // 000000006E38: D1CB006B 05AE0D0B
	v_fma_f32 v120, v12, v6, v120                              // 000000006E40: D1CB0078 05E20D0C
	v_fma_f32 v121, v13, v6, v121                              // 000000006E48: D1CB0079 05E60D0D
	v_fma_f32 v122, v14, v6, v122                              // 000000006E50: D1CB007A 05EA0D0E
	v_fma_f32 v123, v15, v6, v123                              // 000000006E58: D1CB007B 05EE0D0F
	s_waitcnt vmcnt(21)                                        // 000000006E60: BF8C4F75
	s_barrier                                                  // 000000006E64: BF8A0000
	v_mul_f32_dpp v4, v29, v42 row_newbcast:0 row_mask:0xf bank_mask:0xf// 000000006E68: 0A0854FA FF01501D
	v_mfma_f32_16x16x32_fp8_fp8 v[8:11], a[128:129], a[32:33], 0// 000000006E70: D3F30008 1A024180
	buffer_load_dword v27, v23, s[32:35], 0 offen              // 000000006E78: E0501000 80081B17
	v_mfma_f32_16x16x32_fp8_fp8 v[8:11], a[130:131], a[34:35], v[8:11]// 000000006E80: D3F30008 1C224582
	buffer_load_dwordx4 a[96:99], v54, s[84:87], 0 offen       // 000000006E88: E05C1000 80956036
	v_mfma_f32_16x16x32_fp8_fp8 v[8:11], a[132:133], a[36:37], v[8:11]// 000000006E90: D3F30008 1C224984
	v_mfma_f32_16x16x32_fp8_fp8 v[8:11], a[134:135], a[38:39], v[8:11]// 000000006E98: D3F30008 1C224D86
	ds_read_b128 a[0:3], v2                                    // 000000006EA0: DBFE0000 00000002
	ds_read_b128 a[4:7], v2 offset:64                          // 000000006EA8: DBFE0040 04000002
	v_mfma_f32_16x16x32_fp8_fp8 v[12:15], a[136:137], a[32:33], 0// 000000006EB0: D3F3000C 1A024188
	v_mfma_f32_16x16x32_fp8_fp8 v[12:15], a[138:139], a[34:35], v[12:15]// 000000006EB8: D3F3000C 1C32458A
	buffer_load_dwordx4 a[100:103], v54, s[84:87], 0 offen offset:1024// 000000006EC0: E05C1400 80956436
	v_mfma_f32_16x16x32_fp8_fp8 v[12:15], a[140:141], a[36:37], v[12:15]// 000000006EC8: D3F3000C 1C32498C
	v_mfma_f32_16x16x32_fp8_fp8 v[12:15], a[142:143], a[38:39], v[12:15]// 000000006ED0: D3F3000C 1C324D8E
	ds_read_b128 a[8:11], v2 offset:512                        // 000000006ED8: DBFE0200 08000002
	ds_read_b128 a[12:15], v2 offset:576                       // 000000006EE0: DBFE0240 0C000002
	v_fma_f32 v124, v8, v4, v124                               // 000000006EE8: D1CB007C 05F20908
	v_fma_f32 v125, v9, v4, v125                               // 000000006EF0: D1CB007D 05F60909
	v_fma_f32 v126, v10, v4, v126                              // 000000006EF8: D1CB007E 05FA090A
	v_fma_f32 v127, v11, v4, v127                              // 000000006F00: D1CB007F 05FE090B
	v_mul_f32_dpp v6, v29, v42 row_newbcast:1 row_mask:0xf bank_mask:0xf// 000000006F08: 0A0C54FA FF01511D
	v_mfma_f32_16x16x32_fp8_fp8 v[8:11], a[144:145], a[32:33], 0// 000000006F10: D3F30008 1A024190
	v_mfma_f32_16x16x32_fp8_fp8 v[8:11], a[146:147], a[34:35], v[8:11]// 000000006F18: D3F30008 1C224592
	buffer_load_dwordx4 a[104:107], v55, s[84:87], 0 offen     // 000000006F20: E05C1000 80956837
	v_mfma_f32_16x16x32_fp8_fp8 v[8:11], a[148:149], a[36:37], v[8:11]// 000000006F28: D3F30008 1C224994
	v_mfma_f32_16x16x32_fp8_fp8 v[8:11], a[150:151], a[38:39], v[8:11]// 000000006F30: D3F30008 1C224D96
	ds_read_b128 a[16:19], v2 offset:1024                      // 000000006F38: DBFE0400 10000002
	ds_read_b128 a[20:23], v2 offset:1088                      // 000000006F40: DBFE0440 14000002
	v_fma_f32 v140, v12, v4, v140                              // 000000006F48: D1CB008C 0632090C
	v_fma_f32 v141, v13, v4, v141                              // 000000006F50: D1CB008D 0636090D
	v_fma_f32 v142, v14, v4, v142                              // 000000006F58: D1CB008E 063A090E
	v_fma_f32 v143, v15, v4, v143                              // 000000006F60: D1CB008F 063E090F
	v_mfma_f32_16x16x32_fp8_fp8 v[12:15], a[152:153], a[32:33], 0// 000000006F68: D3F3000C 1A024198
	v_mfma_f32_16x16x32_fp8_fp8 v[12:15], a[154:155], a[34:35], v[12:15]// 000000006F70: D3F3000C 1C32459A
	buffer_load_dwordx4 a[108:111], v55, s[84:87], 0 offen offset:1024// 000000006F78: E05C1400 80956C37
	v_mfma_f32_16x16x32_fp8_fp8 v[12:15], a[156:157], a[36:37], v[12:15]// 000000006F80: D3F3000C 1C32499C
	v_mfma_f32_16x16x32_fp8_fp8 v[12:15], a[158:159], a[38:39], v[12:15]// 000000006F88: D3F3000C 1C324D9E
	ds_read_b128 a[24:27], v2 offset:1536                      // 000000006F90: DBFE0600 18000002
	ds_read_b128 a[28:31], v2 offset:1600                      // 000000006F98: DBFE0640 1C000002
	v_fma_f32 v156, v8, v6, v156                               // 000000006FA0: D1CB009C 06720D08
	v_fma_f32 v157, v9, v6, v157                               // 000000006FA8: D1CB009D 06760D09
	v_fma_f32 v158, v10, v6, v158                              // 000000006FB0: D1CB009E 067A0D0A
	v_fma_f32 v159, v11, v6, v159                              // 000000006FB8: D1CB009F 067E0D0B
	v_mul_f32_dpp v4, v29, v43 row_newbcast:0 row_mask:0xf bank_mask:0xf// 000000006FC0: 0A0856FA FF01501D
	v_mfma_f32_16x16x32_fp8_fp8 v[8:11], a[128:129], a[40:41], 0// 000000006FC8: D3F30008 1A025180
	v_mfma_f32_16x16x32_fp8_fp8 v[8:11], a[130:131], a[42:43], v[8:11]// 000000006FD0: D3F30008 1C225582
	buffer_load_dwordx4 a[112:115], v56, s[84:87], 0 offen     // 000000006FD8: E05C1000 80957038
	v_mfma_f32_16x16x32_fp8_fp8 v[8:11], a[132:133], a[44:45], v[8:11]// 000000006FE0: D3F30008 1C225984
	v_mfma_f32_16x16x32_fp8_fp8 v[8:11], a[134:135], a[46:47], v[8:11]// 000000006FE8: D3F30008 1C225D86
	v_fma_f32 v172, v12, v6, v172                              // 000000006FF0: D1CB00AC 06B20D0C
	v_fma_f32 v173, v13, v6, v173                              // 000000006FF8: D1CB00AD 06B60D0D
	v_fma_f32 v174, v14, v6, v174                              // 000000007000: D1CB00AE 06BA0D0E
	v_fma_f32 v175, v15, v6, v175                              // 000000007008: D1CB00AF 06BE0D0F
	v_mfma_f32_16x16x32_fp8_fp8 v[12:15], a[136:137], a[40:41], 0// 000000007010: D3F3000C 1A025188
	v_mfma_f32_16x16x32_fp8_fp8 v[12:15], a[138:139], a[42:43], v[12:15]// 000000007018: D3F3000C 1C32558A
	buffer_load_dwordx4 a[116:119], v56, s[84:87], 0 offen offset:1024// 000000007020: E05C1400 80957438
	v_mfma_f32_16x16x32_fp8_fp8 v[12:15], a[140:141], a[44:45], v[12:15]// 000000007028: D3F3000C 1C32598C
	v_mfma_f32_16x16x32_fp8_fp8 v[12:15], a[142:143], a[46:47], v[12:15]// 000000007030: D3F3000C 1C325D8E
	v_fma_f32 v128, v8, v4, v128                               // 000000007038: D1CB0080 06020908
	v_fma_f32 v129, v9, v4, v129                               // 000000007040: D1CB0081 06060909
	v_fma_f32 v130, v10, v4, v130                              // 000000007048: D1CB0082 060A090A
	v_fma_f32 v131, v11, v4, v131                              // 000000007050: D1CB0083 060E090B
	v_mul_f32_dpp v6, v29, v43 row_newbcast:1 row_mask:0xf bank_mask:0xf// 000000007058: 0A0C56FA FF01511D
	v_mfma_f32_16x16x32_fp8_fp8 v[8:11], a[144:145], a[40:41], 0// 000000007060: D3F30008 1A025190
	v_mfma_f32_16x16x32_fp8_fp8 v[8:11], a[146:147], a[42:43], v[8:11]// 000000007068: D3F30008 1C225592
	buffer_load_dwordx4 a[120:123], v57, s[84:87], 0 offen     // 000000007070: E05C1000 80957839
	v_mfma_f32_16x16x32_fp8_fp8 v[8:11], a[148:149], a[44:45], v[8:11]// 000000007078: D3F30008 1C225994
	v_mfma_f32_16x16x32_fp8_fp8 v[8:11], a[150:151], a[46:47], v[8:11]// 000000007080: D3F30008 1C225D96
	v_fma_f32 v144, v12, v4, v144                              // 000000007088: D1CB0090 0642090C
	v_fma_f32 v145, v13, v4, v145                              // 000000007090: D1CB0091 0646090D
	v_fma_f32 v146, v14, v4, v146                              // 000000007098: D1CB0092 064A090E
	v_fma_f32 v147, v15, v4, v147                              // 0000000070A0: D1CB0093 064E090F
	v_mfma_f32_16x16x32_fp8_fp8 v[12:15], a[152:153], a[40:41], 0// 0000000070A8: D3F3000C 1A025198
	v_mfma_f32_16x16x32_fp8_fp8 v[12:15], a[154:155], a[42:43], v[12:15]// 0000000070B0: D3F3000C 1C32559A
	buffer_load_dwordx4 a[124:127], v57, s[84:87], 0 offen offset:1024// 0000000070B8: E05C1400 80957C39
	v_mfma_f32_16x16x32_fp8_fp8 v[12:15], a[156:157], a[44:45], v[12:15]// 0000000070C0: D3F3000C 1C32599C
	v_mfma_f32_16x16x32_fp8_fp8 v[12:15], a[158:159], a[46:47], v[12:15]// 0000000070C8: D3F3000C 1C325D9E
	v_fma_f32 v160, v8, v6, v160                               // 0000000070D0: D1CB00A0 06820D08
	v_fma_f32 v161, v9, v6, v161                               // 0000000070D8: D1CB00A1 06860D09
	v_fma_f32 v162, v10, v6, v162                              // 0000000070E0: D1CB00A2 068A0D0A
	v_fma_f32 v163, v11, v6, v163                              // 0000000070E8: D1CB00A3 068E0D0B
	v_mul_f32_dpp v4, v29, v44 row_newbcast:0 row_mask:0xf bank_mask:0xf// 0000000070F0: 0A0858FA FF01501D
	v_mfma_f32_16x16x32_fp8_fp8 v[8:11], a[128:129], a[48:49], 0// 0000000070F8: D3F30008 1A026180
	v_mfma_f32_16x16x32_fp8_fp8 v[8:11], a[130:131], a[50:51], v[8:11]// 000000007100: D3F30008 1C226582
	v_mfma_f32_16x16x32_fp8_fp8 v[8:11], a[132:133], a[52:53], v[8:11]// 000000007108: D3F30008 1C226984
	v_mfma_f32_16x16x32_fp8_fp8 v[8:11], a[134:135], a[54:55], v[8:11]// 000000007110: D3F30008 1C226D86
	v_fma_f32 v176, v12, v6, v176                              // 000000007118: D1CB00B0 06C20D0C
	v_fma_f32 v177, v13, v6, v177                              // 000000007120: D1CB00B1 06C60D0D
	v_fma_f32 v178, v14, v6, v178                              // 000000007128: D1CB00B2 06CA0D0E
	v_fma_f32 v179, v15, v6, v179                              // 000000007130: D1CB00B3 06CE0D0F
	v_mfma_f32_16x16x32_fp8_fp8 v[12:15], a[136:137], a[48:49], 0// 000000007138: D3F3000C 1A026188
	v_mfma_f32_16x16x32_fp8_fp8 v[12:15], a[138:139], a[50:51], v[12:15]// 000000007140: D3F3000C 1C32658A
	v_mfma_f32_16x16x32_fp8_fp8 v[12:15], a[140:141], a[52:53], v[12:15]// 000000007148: D3F3000C 1C32698C
	v_mfma_f32_16x16x32_fp8_fp8 v[12:15], a[142:143], a[54:55], v[12:15]// 000000007150: D3F3000C 1C326D8E
	v_fma_f32 v132, v8, v4, v132                               // 000000007158: D1CB0084 06120908
	v_fma_f32 v133, v9, v4, v133                               // 000000007160: D1CB0085 06160909
	v_fma_f32 v134, v10, v4, v134                              // 000000007168: D1CB0086 061A090A
	v_fma_f32 v135, v11, v4, v135                              // 000000007170: D1CB0087 061E090B
	v_mul_f32_dpp v6, v29, v44 row_newbcast:1 row_mask:0xf bank_mask:0xf// 000000007178: 0A0C58FA FF01511D
	v_mfma_f32_16x16x32_fp8_fp8 v[8:11], a[144:145], a[48:49], 0// 000000007180: D3F30008 1A026190
	v_mfma_f32_16x16x32_fp8_fp8 v[8:11], a[146:147], a[50:51], v[8:11]// 000000007188: D3F30008 1C226592
	v_mfma_f32_16x16x32_fp8_fp8 v[8:11], a[148:149], a[52:53], v[8:11]// 000000007190: D3F30008 1C226994
	v_mfma_f32_16x16x32_fp8_fp8 v[8:11], a[150:151], a[54:55], v[8:11]// 000000007198: D3F30008 1C226D96
	v_fma_f32 v148, v12, v4, v148                              // 0000000071A0: D1CB0094 0652090C
	v_fma_f32 v149, v13, v4, v149                              // 0000000071A8: D1CB0095 0656090D
	v_fma_f32 v150, v14, v4, v150                              // 0000000071B0: D1CB0096 065A090E
	v_fma_f32 v151, v15, v4, v151                              // 0000000071B8: D1CB0097 065E090F
	v_mfma_f32_16x16x32_fp8_fp8 v[12:15], a[152:153], a[48:49], 0// 0000000071C0: D3F3000C 1A026198
	v_mfma_f32_16x16x32_fp8_fp8 v[12:15], a[154:155], a[50:51], v[12:15]// 0000000071C8: D3F3000C 1C32659A
	v_mfma_f32_16x16x32_fp8_fp8 v[12:15], a[156:157], a[52:53], v[12:15]// 0000000071D0: D3F3000C 1C32699C
	v_mfma_f32_16x16x32_fp8_fp8 v[12:15], a[158:159], a[54:55], v[12:15]// 0000000071D8: D3F3000C 1C326D9E
	v_fma_f32 v164, v8, v6, v164                               // 0000000071E0: D1CB00A4 06920D08
	v_fma_f32 v165, v9, v6, v165                               // 0000000071E8: D1CB00A5 06960D09
	v_fma_f32 v166, v10, v6, v166                              // 0000000071F0: D1CB00A6 069A0D0A
	v_fma_f32 v167, v11, v6, v167                              // 0000000071F8: D1CB00A7 069E0D0B
	v_mul_f32_dpp v4, v29, v45 row_newbcast:0 row_mask:0xf bank_mask:0xf// 000000007200: 0A085AFA FF01501D
	v_mfma_f32_16x16x32_fp8_fp8 v[8:11], a[128:129], a[56:57], 0// 000000007208: D3F30008 1A027180
	v_mfma_f32_16x16x32_fp8_fp8 v[8:11], a[130:131], a[58:59], v[8:11]// 000000007210: D3F30008 1C227582
	v_mfma_f32_16x16x32_fp8_fp8 v[8:11], a[132:133], a[60:61], v[8:11]// 000000007218: D3F30008 1C227984
	v_mfma_f32_16x16x32_fp8_fp8 v[8:11], a[134:135], a[62:63], v[8:11]// 000000007220: D3F30008 1C227D86
	v_fma_f32 v180, v12, v6, v180                              // 000000007228: D1CB00B4 06D20D0C
	v_fma_f32 v181, v13, v6, v181                              // 000000007230: D1CB00B5 06D60D0D
	v_fma_f32 v182, v14, v6, v182                              // 000000007238: D1CB00B6 06DA0D0E
	v_fma_f32 v183, v15, v6, v183                              // 000000007240: D1CB00B7 06DE0D0F
	v_mfma_f32_16x16x32_fp8_fp8 v[12:15], a[136:137], a[56:57], 0// 000000007248: D3F3000C 1A027188
	v_mfma_f32_16x16x32_fp8_fp8 v[12:15], a[138:139], a[58:59], v[12:15]// 000000007250: D3F3000C 1C32758A
	v_mfma_f32_16x16x32_fp8_fp8 v[12:15], a[140:141], a[60:61], v[12:15]// 000000007258: D3F3000C 1C32798C
	v_mfma_f32_16x16x32_fp8_fp8 v[12:15], a[142:143], a[62:63], v[12:15]// 000000007260: D3F3000C 1C327D8E
	v_fma_f32 v136, v8, v4, v136                               // 000000007268: D1CB0088 06220908
	v_fma_f32 v137, v9, v4, v137                               // 000000007270: D1CB0089 06260909
	v_fma_f32 v138, v10, v4, v138                              // 000000007278: D1CB008A 062A090A
	v_fma_f32 v139, v11, v4, v139                              // 000000007280: D1CB008B 062E090B
	v_mul_f32_dpp v6, v29, v45 row_newbcast:1 row_mask:0xf bank_mask:0xf// 000000007288: 0A0C5AFA FF01511D
	v_mfma_f32_16x16x32_fp8_fp8 v[8:11], a[144:145], a[56:57], 0// 000000007290: D3F30008 1A027190
	s_add_u32 s60, 0x180, s80                                  // 000000007298: 803C50FF 00000180
	s_cmp_lt_u32 s60, s81                                      // 0000000072A0: BF0A513C
	s_cselect_b32 s57, s57, 0                                  // 0000000072A4: 85398039
	s_cselect_b32 s3, s3, 0                                    // 0000000072A8: 85038003
	v_mfma_f32_16x16x32_fp8_fp8 v[8:11], a[146:147], a[58:59], v[8:11]// 0000000072AC: D3F30008 1C227592
	s_add_u32 s60, 0x100, s80                                  // 0000000072B4: 803C50FF 00000100
	s_cmp_lt_u32 s60, s81                                      // 0000000072BC: BF0A513C
	s_cselect_b32 s58, s58, 0                                  // 0000000072C0: 853A803A
	v_mfma_f32_16x16x32_fp8_fp8 v[8:11], a[148:149], a[60:61], v[8:11]// 0000000072C4: D3F30008 1C227994
	s_add_u32 s60, 0x100, s80                                  // 0000000072CC: 803C50FF 00000100
	s_cmp_lt_u32 s60, s81                                      // 0000000072D4: BF0A513C
	s_cselect_b32 s83, s83, 0                                  // 0000000072D8: 85538053
	s_cselect_b32 s4, s4, 0                                    // 0000000072DC: 85048004
	v_mfma_f32_16x16x32_fp8_fp8 v[8:11], a[150:151], a[62:63], v[8:11]// 0000000072E0: D3F30008 1C227D96
	s_add_u32 s24, s58, s24                                    // 0000000072E8: 8018183A
	s_addc_u32 s25, 0, s25                                     // 0000000072EC: 82191980
	v_fma_f32 v152, v12, v4, v152                              // 0000000072F0: D1CB0098 0662090C
	v_fma_f32 v153, v13, v4, v153                              // 0000000072F8: D1CB0099 0666090D
	v_fma_f32 v154, v14, v4, v154                              // 000000007300: D1CB009A 066A090E
	v_fma_f32 v155, v15, v4, v155                              // 000000007308: D1CB009B 066E090F
	v_mfma_f32_16x16x32_fp8_fp8 v[12:15], a[152:153], a[56:57], 0// 000000007310: D3F3000C 1A027198
	s_add_u32 s20, s57, s20                                    // 000000007318: 80141439
	s_addc_u32 s21, 0, s21                                     // 00000000731C: 82151580
	s_add_u32 s28, s3, s28                                     // 000000007320: 801C1C03
	s_addc_u32 s29, 0, s29                                     // 000000007324: 821D1D80
	v_mfma_f32_16x16x32_fp8_fp8 v[12:15], a[154:155], a[58:59], v[12:15]// 000000007328: D3F3000C 1C32759A
	s_add_u32 s84, s83, s84                                    // 000000007330: 80545453
	s_addc_u32 s85, 0, s85                                     // 000000007334: 82555580
	v_mfma_f32_16x16x32_fp8_fp8 v[12:15], a[156:157], a[60:61], v[12:15]// 000000007338: D3F3000C 1C32799C
	s_add_u32 s32, s4, s32                                     // 000000007340: 80202004
	s_addc_u32 s33, 0, s33                                     // 000000007344: 82212180
	v_mfma_f32_16x16x32_fp8_fp8 v[12:15], a[158:159], a[62:63], v[12:15]// 000000007348: D3F3000C 1C327D9E
	v_fma_f32 v168, v8, v6, v168                               // 000000007350: D1CB00A8 06A20D08
	v_fma_f32 v169, v9, v6, v169                               // 000000007358: D1CB00A9 06A60D09
	v_fma_f32 v170, v10, v6, v170                              // 000000007360: D1CB00AA 06AA0D0A
	v_fma_f32 v171, v11, v6, v171                              // 000000007368: D1CB00AB 06AE0D0B
	v_fma_f32 v184, v12, v6, v184                              // 000000007370: D1CB00B8 06E20D0C
	v_fma_f32 v185, v13, v6, v185                              // 000000007378: D1CB00B9 06E60D0D
	v_fma_f32 v186, v14, v6, v186                              // 000000007380: D1CB00BA 06EA0D0E
	v_fma_f32 v187, v15, v6, v187                              // 000000007388: D1CB00BB 06EE0D0F
	s_addk_i32 s80, 0x80                                       // 000000007390: B7500080
	s_cmp_lt_i32 s80, s81                                      // 000000007394: BF045150
	s_cbranch_scc0 label_1268                                  // 000000007398: BF840001
	s_branch label_02D1                                        // 00000000739C: BF82F069

00000000000073a0 <label_1268>:
	s_cmp_eq_u32 s88, 0                                        // 0000000073A0: BF068058
	s_cbranch_scc0 label_1BBD                                  // 0000000073A4: BF840953
	s_cmp_eq_u32 s89, 0                                        // 0000000073A8: BF068059
	s_cbranch_scc1 label_14F1                                  // 0000000073AC: BF850285
	v_mov_b32_e32 v8, v1                                       // 0000000073B0: 7E100301
	v_mov_b32_e32 v9, v1                                       // 0000000073B4: 7E120301
	s_mov_b32 s60, s6                                          // 0000000073B8: BEBC0006
	s_mov_b32 s61, s6                                          // 0000000073BC: BEBD0006
	v_pk_mul_f32 v[4:5], v[60:61], v[60:61]                    // 0000000073C0: D3B14004 1802793C
	v_pk_mul_f32 v[6:7], v[62:63], v[62:63]                    // 0000000073C8: D3B14006 18027D3E
	v_pk_fma_f32 v[4:5], v[4:5], s[78:79], v[8:9]              // 0000000073D0: D3B04004 1C209D04
	v_pk_fma_f32 v[6:7], v[6:7], s[78:79], v[8:9]              // 0000000073D8: D3B04006 1C209D06
	v_pk_mul_f32 v[4:5], v[4:5], v[60:61]                      // 0000000073E0: D3B14004 18027904
	v_pk_mul_f32 v[6:7], v[6:7], v[62:63]                      // 0000000073E8: D3B14006 18027D06
	v_pk_mul_f32 v[4:5], v[4:5], s[60:61]                      // 0000000073F0: D3B14004 18007904
	v_pk_mul_f32 v[6:7], v[6:7], s[60:61]                      // 0000000073F8: D3B14006 18007906
	v_exp_f32_e32 v4, v4                                       // 000000007400: 7E084104
	v_exp_f32_e32 v5, v5                                       // 000000007404: 7E0A4105
	v_exp_f32_e32 v6, v6                                       // 000000007408: 7E0C4106
	v_exp_f32_e32 v7, v7                                       // 00000000740C: 7E0E4107
	v_add_f32_e64 v4, v4, 1.0                                  // 000000007410: D1010004 0001E504
	v_add_f32_e64 v5, v5, 1.0                                  // 000000007418: D1010005 0001E505
	v_add_f32_e64 v6, v6, 1.0                                  // 000000007420: D1010006 0001E506
	v_add_f32_e64 v7, v7, 1.0                                  // 000000007428: D1010007 0001E507
	v_rcp_f32_e32 v4, v4                                       // 000000007430: 7E084504
	v_rcp_f32_e32 v5, v5                                       // 000000007434: 7E0A4505
	v_rcp_f32_e32 v6, v6                                       // 000000007438: 7E0C4506
	v_rcp_f32_e32 v7, v7                                       // 00000000743C: 7E0E4507
	v_mul_f32_e32 v60, v60, v4                                 // 000000007440: 0A78093C
	v_mul_f32_e32 v61, v61, v5                                 // 000000007444: 0A7A0B3D
	v_mul_f32_e32 v62, v62, v6                                 // 000000007448: 0A7C0D3E
	v_mul_f32_e32 v63, v63, v7                                 // 00000000744C: 0A7E0F3F
	v_mul_f32_e32 v60, v60, v124                               // 000000007450: 0A78F93C
	v_mul_f32_e32 v61, v61, v125                               // 000000007454: 0A7AFB3D
	v_mul_f32_e32 v62, v62, v126                               // 000000007458: 0A7CFD3E
	v_mul_f32_e32 v63, v63, v127                               // 00000000745C: 0A7EFF3F
	v_pk_mul_f32 v[4:5], v[64:65], v[64:65]                    // 000000007460: D3B14004 18028140
	v_pk_mul_f32 v[6:7], v[66:67], v[66:67]                    // 000000007468: D3B14006 18028542
	v_pk_fma_f32 v[4:5], v[4:5], s[78:79], v[8:9]              // 000000007470: D3B04004 1C209D04
	v_pk_fma_f32 v[6:7], v[6:7], s[78:79], v[8:9]              // 000000007478: D3B04006 1C209D06
	v_pk_mul_f32 v[4:5], v[4:5], v[64:65]                      // 000000007480: D3B14004 18028104
	v_pk_mul_f32 v[6:7], v[6:7], v[66:67]                      // 000000007488: D3B14006 18028506
	v_pk_mul_f32 v[4:5], v[4:5], s[60:61]                      // 000000007490: D3B14004 18007904
	v_pk_mul_f32 v[6:7], v[6:7], s[60:61]                      // 000000007498: D3B14006 18007906
	v_exp_f32_e32 v4, v4                                       // 0000000074A0: 7E084104
	v_exp_f32_e32 v5, v5                                       // 0000000074A4: 7E0A4105
	v_exp_f32_e32 v6, v6                                       // 0000000074A8: 7E0C4106
	v_exp_f32_e32 v7, v7                                       // 0000000074AC: 7E0E4107
	v_add_f32_e64 v4, v4, 1.0                                  // 0000000074B0: D1010004 0001E504
	v_add_f32_e64 v5, v5, 1.0                                  // 0000000074B8: D1010005 0001E505
	v_add_f32_e64 v6, v6, 1.0                                  // 0000000074C0: D1010006 0001E506
	v_add_f32_e64 v7, v7, 1.0                                  // 0000000074C8: D1010007 0001E507
	v_rcp_f32_e32 v4, v4                                       // 0000000074D0: 7E084504
	v_rcp_f32_e32 v5, v5                                       // 0000000074D4: 7E0A4505
	v_rcp_f32_e32 v6, v6                                       // 0000000074D8: 7E0C4506
	v_rcp_f32_e32 v7, v7                                       // 0000000074DC: 7E0E4507
	v_mul_f32_e32 v64, v64, v4                                 // 0000000074E0: 0A800940
	v_mul_f32_e32 v65, v65, v5                                 // 0000000074E4: 0A820B41
	v_mul_f32_e32 v66, v66, v6                                 // 0000000074E8: 0A840D42
	v_mul_f32_e32 v67, v67, v7                                 // 0000000074EC: 0A860F43
	v_mul_f32_e32 v64, v64, v128                               // 0000000074F0: 0A810140
	v_mul_f32_e32 v65, v65, v129                               // 0000000074F4: 0A830341
	v_mul_f32_e32 v66, v66, v130                               // 0000000074F8: 0A850542
	v_mul_f32_e32 v67, v67, v131                               // 0000000074FC: 0A870743
	v_pk_mul_f32 v[4:5], v[68:69], v[68:69]                    // 000000007500: D3B14004 18028944
	v_pk_mul_f32 v[6:7], v[70:71], v[70:71]                    // 000000007508: D3B14006 18028D46
	v_pk_fma_f32 v[4:5], v[4:5], s[78:79], v[8:9]              // 000000007510: D3B04004 1C209D04
	v_pk_fma_f32 v[6:7], v[6:7], s[78:79], v[8:9]              // 000000007518: D3B04006 1C209D06
	v_pk_mul_f32 v[4:5], v[4:5], v[68:69]                      // 000000007520: D3B14004 18028904
	v_pk_mul_f32 v[6:7], v[6:7], v[70:71]                      // 000000007528: D3B14006 18028D06
	v_pk_mul_f32 v[4:5], v[4:5], s[60:61]                      // 000000007530: D3B14004 18007904
	v_pk_mul_f32 v[6:7], v[6:7], s[60:61]                      // 000000007538: D3B14006 18007906
	v_exp_f32_e32 v4, v4                                       // 000000007540: 7E084104
	v_exp_f32_e32 v5, v5                                       // 000000007544: 7E0A4105
	v_exp_f32_e32 v6, v6                                       // 000000007548: 7E0C4106
	v_exp_f32_e32 v7, v7                                       // 00000000754C: 7E0E4107
	v_add_f32_e64 v4, v4, 1.0                                  // 000000007550: D1010004 0001E504
	v_add_f32_e64 v5, v5, 1.0                                  // 000000007558: D1010005 0001E505
	v_add_f32_e64 v6, v6, 1.0                                  // 000000007560: D1010006 0001E506
	v_add_f32_e64 v7, v7, 1.0                                  // 000000007568: D1010007 0001E507
	v_rcp_f32_e32 v4, v4                                       // 000000007570: 7E084504
	v_rcp_f32_e32 v5, v5                                       // 000000007574: 7E0A4505
	v_rcp_f32_e32 v6, v6                                       // 000000007578: 7E0C4506
	v_rcp_f32_e32 v7, v7                                       // 00000000757C: 7E0E4507
	v_mul_f32_e32 v68, v68, v4                                 // 000000007580: 0A880944
	v_mul_f32_e32 v69, v69, v5                                 // 000000007584: 0A8A0B45
	v_mul_f32_e32 v70, v70, v6                                 // 000000007588: 0A8C0D46
	v_mul_f32_e32 v71, v71, v7                                 // 00000000758C: 0A8E0F47
	v_mul_f32_e32 v68, v68, v132                               // 000000007590: 0A890944
	v_mul_f32_e32 v69, v69, v133                               // 000000007594: 0A8B0B45
	v_mul_f32_e32 v70, v70, v134                               // 000000007598: 0A8D0D46
	v_mul_f32_e32 v71, v71, v135                               // 00000000759C: 0A8F0F47
	v_pk_mul_f32 v[4:5], v[72:73], v[72:73]                    // 0000000075A0: D3B14004 18029148
	v_pk_mul_f32 v[6:7], v[74:75], v[74:75]                    // 0000000075A8: D3B14006 1802954A
	v_pk_fma_f32 v[4:5], v[4:5], s[78:79], v[8:9]              // 0000000075B0: D3B04004 1C209D04
	v_pk_fma_f32 v[6:7], v[6:7], s[78:79], v[8:9]              // 0000000075B8: D3B04006 1C209D06
	v_pk_mul_f32 v[4:5], v[4:5], v[72:73]                      // 0000000075C0: D3B14004 18029104
	v_pk_mul_f32 v[6:7], v[6:7], v[74:75]                      // 0000000075C8: D3B14006 18029506
	v_pk_mul_f32 v[4:5], v[4:5], s[60:61]                      // 0000000075D0: D3B14004 18007904
	v_pk_mul_f32 v[6:7], v[6:7], s[60:61]                      // 0000000075D8: D3B14006 18007906
	v_exp_f32_e32 v4, v4                                       // 0000000075E0: 7E084104
	v_exp_f32_e32 v5, v5                                       // 0000000075E4: 7E0A4105
	v_exp_f32_e32 v6, v6                                       // 0000000075E8: 7E0C4106
	v_exp_f32_e32 v7, v7                                       // 0000000075EC: 7E0E4107
	v_add_f32_e64 v4, v4, 1.0                                  // 0000000075F0: D1010004 0001E504
	v_add_f32_e64 v5, v5, 1.0                                  // 0000000075F8: D1010005 0001E505
	v_add_f32_e64 v6, v6, 1.0                                  // 000000007600: D1010006 0001E506
	v_add_f32_e64 v7, v7, 1.0                                  // 000000007608: D1010007 0001E507
	v_rcp_f32_e32 v4, v4                                       // 000000007610: 7E084504
	v_rcp_f32_e32 v5, v5                                       // 000000007614: 7E0A4505
	v_rcp_f32_e32 v6, v6                                       // 000000007618: 7E0C4506
	v_rcp_f32_e32 v7, v7                                       // 00000000761C: 7E0E4507
	v_mul_f32_e32 v72, v72, v4                                 // 000000007620: 0A900948
	v_mul_f32_e32 v73, v73, v5                                 // 000000007624: 0A920B49
	v_mul_f32_e32 v74, v74, v6                                 // 000000007628: 0A940D4A
	v_mul_f32_e32 v75, v75, v7                                 // 00000000762C: 0A960F4B
	v_mul_f32_e32 v72, v72, v136                               // 000000007630: 0A911148
	v_mul_f32_e32 v73, v73, v137                               // 000000007634: 0A931349
	v_mul_f32_e32 v74, v74, v138                               // 000000007638: 0A95154A
	v_mul_f32_e32 v75, v75, v139                               // 00000000763C: 0A97174B
	v_pk_mul_f32 v[4:5], v[76:77], v[76:77]                    // 000000007640: D3B14004 1802994C
	v_pk_mul_f32 v[6:7], v[78:79], v[78:79]                    // 000000007648: D3B14006 18029D4E
	v_pk_fma_f32 v[4:5], v[4:5], s[78:79], v[8:9]              // 000000007650: D3B04004 1C209D04
	v_pk_fma_f32 v[6:7], v[6:7], s[78:79], v[8:9]              // 000000007658: D3B04006 1C209D06
	v_pk_mul_f32 v[4:5], v[4:5], v[76:77]                      // 000000007660: D3B14004 18029904
	v_pk_mul_f32 v[6:7], v[6:7], v[78:79]                      // 000000007668: D3B14006 18029D06
	v_pk_mul_f32 v[4:5], v[4:5], s[60:61]                      // 000000007670: D3B14004 18007904
	v_pk_mul_f32 v[6:7], v[6:7], s[60:61]                      // 000000007678: D3B14006 18007906
	v_exp_f32_e32 v4, v4                                       // 000000007680: 7E084104
	v_exp_f32_e32 v5, v5                                       // 000000007684: 7E0A4105
	v_exp_f32_e32 v6, v6                                       // 000000007688: 7E0C4106
	v_exp_f32_e32 v7, v7                                       // 00000000768C: 7E0E4107
	v_add_f32_e64 v4, v4, 1.0                                  // 000000007690: D1010004 0001E504
	v_add_f32_e64 v5, v5, 1.0                                  // 000000007698: D1010005 0001E505
	v_add_f32_e64 v6, v6, 1.0                                  // 0000000076A0: D1010006 0001E506
	v_add_f32_e64 v7, v7, 1.0                                  // 0000000076A8: D1010007 0001E507
	v_rcp_f32_e32 v4, v4                                       // 0000000076B0: 7E084504
	v_rcp_f32_e32 v5, v5                                       // 0000000076B4: 7E0A4505
	v_rcp_f32_e32 v6, v6                                       // 0000000076B8: 7E0C4506
	v_rcp_f32_e32 v7, v7                                       // 0000000076BC: 7E0E4507
	v_mul_f32_e32 v76, v76, v4                                 // 0000000076C0: 0A98094C
	v_mul_f32_e32 v77, v77, v5                                 // 0000000076C4: 0A9A0B4D
	v_mul_f32_e32 v78, v78, v6                                 // 0000000076C8: 0A9C0D4E
	v_mul_f32_e32 v79, v79, v7                                 // 0000000076CC: 0A9E0F4F
	v_mul_f32_e32 v76, v76, v140                               // 0000000076D0: 0A99194C
	v_mul_f32_e32 v77, v77, v141                               // 0000000076D4: 0A9B1B4D
	v_mul_f32_e32 v78, v78, v142                               // 0000000076D8: 0A9D1D4E
	v_mul_f32_e32 v79, v79, v143                               // 0000000076DC: 0A9F1F4F
	v_pk_mul_f32 v[4:5], v[80:81], v[80:81]                    // 0000000076E0: D3B14004 1802A150
	v_pk_mul_f32 v[6:7], v[82:83], v[82:83]                    // 0000000076E8: D3B14006 1802A552
	v_pk_fma_f32 v[4:5], v[4:5], s[78:79], v[8:9]              // 0000000076F0: D3B04004 1C209D04
	v_pk_fma_f32 v[6:7], v[6:7], s[78:79], v[8:9]              // 0000000076F8: D3B04006 1C209D06
	v_pk_mul_f32 v[4:5], v[4:5], v[80:81]                      // 000000007700: D3B14004 1802A104
	v_pk_mul_f32 v[6:7], v[6:7], v[82:83]                      // 000000007708: D3B14006 1802A506
	v_pk_mul_f32 v[4:5], v[4:5], s[60:61]                      // 000000007710: D3B14004 18007904
	v_pk_mul_f32 v[6:7], v[6:7], s[60:61]                      // 000000007718: D3B14006 18007906
	v_exp_f32_e32 v4, v4                                       // 000000007720: 7E084104
	v_exp_f32_e32 v5, v5                                       // 000000007724: 7E0A4105
	v_exp_f32_e32 v6, v6                                       // 000000007728: 7E0C4106
	v_exp_f32_e32 v7, v7                                       // 00000000772C: 7E0E4107
	v_add_f32_e64 v4, v4, 1.0                                  // 000000007730: D1010004 0001E504
	v_add_f32_e64 v5, v5, 1.0                                  // 000000007738: D1010005 0001E505
	v_add_f32_e64 v6, v6, 1.0                                  // 000000007740: D1010006 0001E506
	v_add_f32_e64 v7, v7, 1.0                                  // 000000007748: D1010007 0001E507
	v_rcp_f32_e32 v4, v4                                       // 000000007750: 7E084504
	v_rcp_f32_e32 v5, v5                                       // 000000007754: 7E0A4505
	v_rcp_f32_e32 v6, v6                                       // 000000007758: 7E0C4506
	v_rcp_f32_e32 v7, v7                                       // 00000000775C: 7E0E4507
	v_mul_f32_e32 v80, v80, v4                                 // 000000007760: 0AA00950
	v_mul_f32_e32 v81, v81, v5                                 // 000000007764: 0AA20B51
	v_mul_f32_e32 v82, v82, v6                                 // 000000007768: 0AA40D52
	v_mul_f32_e32 v83, v83, v7                                 // 00000000776C: 0AA60F53
	v_mul_f32_e32 v80, v80, v144                               // 000000007770: 0AA12150
	v_mul_f32_e32 v81, v81, v145                               // 000000007774: 0AA32351
	v_mul_f32_e32 v82, v82, v146                               // 000000007778: 0AA52552
	v_mul_f32_e32 v83, v83, v147                               // 00000000777C: 0AA72753
	v_pk_mul_f32 v[4:5], v[84:85], v[84:85]                    // 000000007780: D3B14004 1802A954
	v_pk_mul_f32 v[6:7], v[86:87], v[86:87]                    // 000000007788: D3B14006 1802AD56
	v_pk_fma_f32 v[4:5], v[4:5], s[78:79], v[8:9]              // 000000007790: D3B04004 1C209D04
	v_pk_fma_f32 v[6:7], v[6:7], s[78:79], v[8:9]              // 000000007798: D3B04006 1C209D06
	v_pk_mul_f32 v[4:5], v[4:5], v[84:85]                      // 0000000077A0: D3B14004 1802A904
	v_pk_mul_f32 v[6:7], v[6:7], v[86:87]                      // 0000000077A8: D3B14006 1802AD06
	v_pk_mul_f32 v[4:5], v[4:5], s[60:61]                      // 0000000077B0: D3B14004 18007904
	v_pk_mul_f32 v[6:7], v[6:7], s[60:61]                      // 0000000077B8: D3B14006 18007906
	v_exp_f32_e32 v4, v4                                       // 0000000077C0: 7E084104
	v_exp_f32_e32 v5, v5                                       // 0000000077C4: 7E0A4105
	v_exp_f32_e32 v6, v6                                       // 0000000077C8: 7E0C4106
	v_exp_f32_e32 v7, v7                                       // 0000000077CC: 7E0E4107
	v_add_f32_e64 v4, v4, 1.0                                  // 0000000077D0: D1010004 0001E504
	v_add_f32_e64 v5, v5, 1.0                                  // 0000000077D8: D1010005 0001E505
	v_add_f32_e64 v6, v6, 1.0                                  // 0000000077E0: D1010006 0001E506
	v_add_f32_e64 v7, v7, 1.0                                  // 0000000077E8: D1010007 0001E507
	v_rcp_f32_e32 v4, v4                                       // 0000000077F0: 7E084504
	v_rcp_f32_e32 v5, v5                                       // 0000000077F4: 7E0A4505
	v_rcp_f32_e32 v6, v6                                       // 0000000077F8: 7E0C4506
	v_rcp_f32_e32 v7, v7                                       // 0000000077FC: 7E0E4507
	v_mul_f32_e32 v84, v84, v4                                 // 000000007800: 0AA80954
	v_mul_f32_e32 v85, v85, v5                                 // 000000007804: 0AAA0B55
	v_mul_f32_e32 v86, v86, v6                                 // 000000007808: 0AAC0D56
	v_mul_f32_e32 v87, v87, v7                                 // 00000000780C: 0AAE0F57
	v_mul_f32_e32 v84, v84, v148                               // 000000007810: 0AA92954
	v_mul_f32_e32 v85, v85, v149                               // 000000007814: 0AAB2B55
	v_mul_f32_e32 v86, v86, v150                               // 000000007818: 0AAD2D56
	v_mul_f32_e32 v87, v87, v151                               // 00000000781C: 0AAF2F57
	v_pk_mul_f32 v[4:5], v[88:89], v[88:89]                    // 000000007820: D3B14004 1802B158
	v_pk_mul_f32 v[6:7], v[90:91], v[90:91]                    // 000000007828: D3B14006 1802B55A
	v_pk_fma_f32 v[4:5], v[4:5], s[78:79], v[8:9]              // 000000007830: D3B04004 1C209D04
	v_pk_fma_f32 v[6:7], v[6:7], s[78:79], v[8:9]              // 000000007838: D3B04006 1C209D06
	v_pk_mul_f32 v[4:5], v[4:5], v[88:89]                      // 000000007840: D3B14004 1802B104
	v_pk_mul_f32 v[6:7], v[6:7], v[90:91]                      // 000000007848: D3B14006 1802B506
	v_pk_mul_f32 v[4:5], v[4:5], s[60:61]                      // 000000007850: D3B14004 18007904
	v_pk_mul_f32 v[6:7], v[6:7], s[60:61]                      // 000000007858: D3B14006 18007906
	v_exp_f32_e32 v4, v4                                       // 000000007860: 7E084104
	v_exp_f32_e32 v5, v5                                       // 000000007864: 7E0A4105
	v_exp_f32_e32 v6, v6                                       // 000000007868: 7E0C4106
	v_exp_f32_e32 v7, v7                                       // 00000000786C: 7E0E4107
	v_add_f32_e64 v4, v4, 1.0                                  // 000000007870: D1010004 0001E504
	v_add_f32_e64 v5, v5, 1.0                                  // 000000007878: D1010005 0001E505
	v_add_f32_e64 v6, v6, 1.0                                  // 000000007880: D1010006 0001E506
	v_add_f32_e64 v7, v7, 1.0                                  // 000000007888: D1010007 0001E507
	v_rcp_f32_e32 v4, v4                                       // 000000007890: 7E084504
	v_rcp_f32_e32 v5, v5                                       // 000000007894: 7E0A4505
	v_rcp_f32_e32 v6, v6                                       // 000000007898: 7E0C4506
	v_rcp_f32_e32 v7, v7                                       // 00000000789C: 7E0E4507
	v_mul_f32_e32 v88, v88, v4                                 // 0000000078A0: 0AB00958
	v_mul_f32_e32 v89, v89, v5                                 // 0000000078A4: 0AB20B59
	v_mul_f32_e32 v90, v90, v6                                 // 0000000078A8: 0AB40D5A
	v_mul_f32_e32 v91, v91, v7                                 // 0000000078AC: 0AB60F5B
	v_mul_f32_e32 v88, v88, v152                               // 0000000078B0: 0AB13158
	v_mul_f32_e32 v89, v89, v153                               // 0000000078B4: 0AB33359
	v_mul_f32_e32 v90, v90, v154                               // 0000000078B8: 0AB5355A
	v_mul_f32_e32 v91, v91, v155                               // 0000000078BC: 0AB7375B
	v_pk_mul_f32 v[4:5], v[92:93], v[92:93]                    // 0000000078C0: D3B14004 1802B95C
	v_pk_mul_f32 v[6:7], v[94:95], v[94:95]                    // 0000000078C8: D3B14006 1802BD5E
	v_pk_fma_f32 v[4:5], v[4:5], s[78:79], v[8:9]              // 0000000078D0: D3B04004 1C209D04
	v_pk_fma_f32 v[6:7], v[6:7], s[78:79], v[8:9]              // 0000000078D8: D3B04006 1C209D06
	v_pk_mul_f32 v[4:5], v[4:5], v[92:93]                      // 0000000078E0: D3B14004 1802B904
	v_pk_mul_f32 v[6:7], v[6:7], v[94:95]                      // 0000000078E8: D3B14006 1802BD06
	v_pk_mul_f32 v[4:5], v[4:5], s[60:61]                      // 0000000078F0: D3B14004 18007904
	v_pk_mul_f32 v[6:7], v[6:7], s[60:61]                      // 0000000078F8: D3B14006 18007906
	v_exp_f32_e32 v4, v4                                       // 000000007900: 7E084104
	v_exp_f32_e32 v5, v5                                       // 000000007904: 7E0A4105
	v_exp_f32_e32 v6, v6                                       // 000000007908: 7E0C4106
	v_exp_f32_e32 v7, v7                                       // 00000000790C: 7E0E4107
	v_add_f32_e64 v4, v4, 1.0                                  // 000000007910: D1010004 0001E504
	v_add_f32_e64 v5, v5, 1.0                                  // 000000007918: D1010005 0001E505
	v_add_f32_e64 v6, v6, 1.0                                  // 000000007920: D1010006 0001E506
	v_add_f32_e64 v7, v7, 1.0                                  // 000000007928: D1010007 0001E507
	v_rcp_f32_e32 v4, v4                                       // 000000007930: 7E084504
	v_rcp_f32_e32 v5, v5                                       // 000000007934: 7E0A4505
	v_rcp_f32_e32 v6, v6                                       // 000000007938: 7E0C4506
	v_rcp_f32_e32 v7, v7                                       // 00000000793C: 7E0E4507
	v_mul_f32_e32 v92, v92, v4                                 // 000000007940: 0AB8095C
	v_mul_f32_e32 v93, v93, v5                                 // 000000007944: 0ABA0B5D
	v_mul_f32_e32 v94, v94, v6                                 // 000000007948: 0ABC0D5E
	v_mul_f32_e32 v95, v95, v7                                 // 00000000794C: 0ABE0F5F
	v_mul_f32_e32 v92, v92, v156                               // 000000007950: 0AB9395C
	v_mul_f32_e32 v93, v93, v157                               // 000000007954: 0ABB3B5D
	v_mul_f32_e32 v94, v94, v158                               // 000000007958: 0ABD3D5E
	v_mul_f32_e32 v95, v95, v159                               // 00000000795C: 0ABF3F5F
	v_pk_mul_f32 v[4:5], v[96:97], v[96:97]                    // 000000007960: D3B14004 1802C160
	v_pk_mul_f32 v[6:7], v[98:99], v[98:99]                    // 000000007968: D3B14006 1802C562
	v_pk_fma_f32 v[4:5], v[4:5], s[78:79], v[8:9]              // 000000007970: D3B04004 1C209D04
	v_pk_fma_f32 v[6:7], v[6:7], s[78:79], v[8:9]              // 000000007978: D3B04006 1C209D06
	v_pk_mul_f32 v[4:5], v[4:5], v[96:97]                      // 000000007980: D3B14004 1802C104
	v_pk_mul_f32 v[6:7], v[6:7], v[98:99]                      // 000000007988: D3B14006 1802C506
	v_pk_mul_f32 v[4:5], v[4:5], s[60:61]                      // 000000007990: D3B14004 18007904
	v_pk_mul_f32 v[6:7], v[6:7], s[60:61]                      // 000000007998: D3B14006 18007906
	v_exp_f32_e32 v4, v4                                       // 0000000079A0: 7E084104
	v_exp_f32_e32 v5, v5                                       // 0000000079A4: 7E0A4105
	v_exp_f32_e32 v6, v6                                       // 0000000079A8: 7E0C4106
	v_exp_f32_e32 v7, v7                                       // 0000000079AC: 7E0E4107
	v_add_f32_e64 v4, v4, 1.0                                  // 0000000079B0: D1010004 0001E504
	v_add_f32_e64 v5, v5, 1.0                                  // 0000000079B8: D1010005 0001E505
	v_add_f32_e64 v6, v6, 1.0                                  // 0000000079C0: D1010006 0001E506
	v_add_f32_e64 v7, v7, 1.0                                  // 0000000079C8: D1010007 0001E507
	v_rcp_f32_e32 v4, v4                                       // 0000000079D0: 7E084504
	v_rcp_f32_e32 v5, v5                                       // 0000000079D4: 7E0A4505
	v_rcp_f32_e32 v6, v6                                       // 0000000079D8: 7E0C4506
	v_rcp_f32_e32 v7, v7                                       // 0000000079DC: 7E0E4507
	v_mul_f32_e32 v96, v96, v4                                 // 0000000079E0: 0AC00960
	v_mul_f32_e32 v97, v97, v5                                 // 0000000079E4: 0AC20B61
	v_mul_f32_e32 v98, v98, v6                                 // 0000000079E8: 0AC40D62
	v_mul_f32_e32 v99, v99, v7                                 // 0000000079EC: 0AC60F63
	v_mul_f32_e32 v96, v96, v160                               // 0000000079F0: 0AC14160
	v_mul_f32_e32 v97, v97, v161                               // 0000000079F4: 0AC34361
	v_mul_f32_e32 v98, v98, v162                               // 0000000079F8: 0AC54562
	v_mul_f32_e32 v99, v99, v163                               // 0000000079FC: 0AC74763
	v_pk_mul_f32 v[4:5], v[100:101], v[100:101]                // 000000007A00: D3B14004 1802C964
	v_pk_mul_f32 v[6:7], v[102:103], v[102:103]                // 000000007A08: D3B14006 1802CD66
	v_pk_fma_f32 v[4:5], v[4:5], s[78:79], v[8:9]              // 000000007A10: D3B04004 1C209D04
	v_pk_fma_f32 v[6:7], v[6:7], s[78:79], v[8:9]              // 000000007A18: D3B04006 1C209D06
	v_pk_mul_f32 v[4:5], v[4:5], v[100:101]                    // 000000007A20: D3B14004 1802C904
	v_pk_mul_f32 v[6:7], v[6:7], v[102:103]                    // 000000007A28: D3B14006 1802CD06
	v_pk_mul_f32 v[4:5], v[4:5], s[60:61]                      // 000000007A30: D3B14004 18007904
	v_pk_mul_f32 v[6:7], v[6:7], s[60:61]                      // 000000007A38: D3B14006 18007906
	v_exp_f32_e32 v4, v4                                       // 000000007A40: 7E084104
	v_exp_f32_e32 v5, v5                                       // 000000007A44: 7E0A4105
	v_exp_f32_e32 v6, v6                                       // 000000007A48: 7E0C4106
	v_exp_f32_e32 v7, v7                                       // 000000007A4C: 7E0E4107
	v_add_f32_e64 v4, v4, 1.0                                  // 000000007A50: D1010004 0001E504
	v_add_f32_e64 v5, v5, 1.0                                  // 000000007A58: D1010005 0001E505
	v_add_f32_e64 v6, v6, 1.0                                  // 000000007A60: D1010006 0001E506
	v_add_f32_e64 v7, v7, 1.0                                  // 000000007A68: D1010007 0001E507
	v_rcp_f32_e32 v4, v4                                       // 000000007A70: 7E084504
	v_rcp_f32_e32 v5, v5                                       // 000000007A74: 7E0A4505
	v_rcp_f32_e32 v6, v6                                       // 000000007A78: 7E0C4506
	v_rcp_f32_e32 v7, v7                                       // 000000007A7C: 7E0E4507
	v_mul_f32_e32 v100, v100, v4                               // 000000007A80: 0AC80964
	v_mul_f32_e32 v101, v101, v5                               // 000000007A84: 0ACA0B65
	v_mul_f32_e32 v102, v102, v6                               // 000000007A88: 0ACC0D66
	v_mul_f32_e32 v103, v103, v7                               // 000000007A8C: 0ACE0F67
	v_mul_f32_e32 v100, v100, v164                             // 000000007A90: 0AC94964
	v_mul_f32_e32 v101, v101, v165                             // 000000007A94: 0ACB4B65
	v_mul_f32_e32 v102, v102, v166                             // 000000007A98: 0ACD4D66
	v_mul_f32_e32 v103, v103, v167                             // 000000007A9C: 0ACF4F67
	v_pk_mul_f32 v[4:5], v[104:105], v[104:105]                // 000000007AA0: D3B14004 1802D168
	v_pk_mul_f32 v[6:7], v[106:107], v[106:107]                // 000000007AA8: D3B14006 1802D56A
	v_pk_fma_f32 v[4:5], v[4:5], s[78:79], v[8:9]              // 000000007AB0: D3B04004 1C209D04
	v_pk_fma_f32 v[6:7], v[6:7], s[78:79], v[8:9]              // 000000007AB8: D3B04006 1C209D06
	v_pk_mul_f32 v[4:5], v[4:5], v[104:105]                    // 000000007AC0: D3B14004 1802D104
	v_pk_mul_f32 v[6:7], v[6:7], v[106:107]                    // 000000007AC8: D3B14006 1802D506
	v_pk_mul_f32 v[4:5], v[4:5], s[60:61]                      // 000000007AD0: D3B14004 18007904
	v_pk_mul_f32 v[6:7], v[6:7], s[60:61]                      // 000000007AD8: D3B14006 18007906
	v_exp_f32_e32 v4, v4                                       // 000000007AE0: 7E084104
	v_exp_f32_e32 v5, v5                                       // 000000007AE4: 7E0A4105
	v_exp_f32_e32 v6, v6                                       // 000000007AE8: 7E0C4106
	v_exp_f32_e32 v7, v7                                       // 000000007AEC: 7E0E4107
	v_add_f32_e64 v4, v4, 1.0                                  // 000000007AF0: D1010004 0001E504
	v_add_f32_e64 v5, v5, 1.0                                  // 000000007AF8: D1010005 0001E505
	v_add_f32_e64 v6, v6, 1.0                                  // 000000007B00: D1010006 0001E506
	v_add_f32_e64 v7, v7, 1.0                                  // 000000007B08: D1010007 0001E507
	v_rcp_f32_e32 v4, v4                                       // 000000007B10: 7E084504
	v_rcp_f32_e32 v5, v5                                       // 000000007B14: 7E0A4505
	v_rcp_f32_e32 v6, v6                                       // 000000007B18: 7E0C4506
	v_rcp_f32_e32 v7, v7                                       // 000000007B1C: 7E0E4507
	v_mul_f32_e32 v104, v104, v4                               // 000000007B20: 0AD00968
	v_mul_f32_e32 v105, v105, v5                               // 000000007B24: 0AD20B69
	v_mul_f32_e32 v106, v106, v6                               // 000000007B28: 0AD40D6A
	v_mul_f32_e32 v107, v107, v7                               // 000000007B2C: 0AD60F6B
	v_mul_f32_e32 v104, v104, v168                             // 000000007B30: 0AD15168
	v_mul_f32_e32 v105, v105, v169                             // 000000007B34: 0AD35369
	v_mul_f32_e32 v106, v106, v170                             // 000000007B38: 0AD5556A
	v_mul_f32_e32 v107, v107, v171                             // 000000007B3C: 0AD7576B
	v_pk_mul_f32 v[4:5], v[108:109], v[108:109]                // 000000007B40: D3B14004 1802D96C
	v_pk_mul_f32 v[6:7], v[110:111], v[110:111]                // 000000007B48: D3B14006 1802DD6E
	v_pk_fma_f32 v[4:5], v[4:5], s[78:79], v[8:9]              // 000000007B50: D3B04004 1C209D04
	v_pk_fma_f32 v[6:7], v[6:7], s[78:79], v[8:9]              // 000000007B58: D3B04006 1C209D06
	v_pk_mul_f32 v[4:5], v[4:5], v[108:109]                    // 000000007B60: D3B14004 1802D904
	v_pk_mul_f32 v[6:7], v[6:7], v[110:111]                    // 000000007B68: D3B14006 1802DD06
	v_pk_mul_f32 v[4:5], v[4:5], s[60:61]                      // 000000007B70: D3B14004 18007904
	v_pk_mul_f32 v[6:7], v[6:7], s[60:61]                      // 000000007B78: D3B14006 18007906
	v_exp_f32_e32 v4, v4                                       // 000000007B80: 7E084104
	v_exp_f32_e32 v5, v5                                       // 000000007B84: 7E0A4105
	v_exp_f32_e32 v6, v6                                       // 000000007B88: 7E0C4106
	v_exp_f32_e32 v7, v7                                       // 000000007B8C: 7E0E4107
	v_add_f32_e64 v4, v4, 1.0                                  // 000000007B90: D1010004 0001E504
	v_add_f32_e64 v5, v5, 1.0                                  // 000000007B98: D1010005 0001E505
	v_add_f32_e64 v6, v6, 1.0                                  // 000000007BA0: D1010006 0001E506
	v_add_f32_e64 v7, v7, 1.0                                  // 000000007BA8: D1010007 0001E507
	v_rcp_f32_e32 v4, v4                                       // 000000007BB0: 7E084504
	v_rcp_f32_e32 v5, v5                                       // 000000007BB4: 7E0A4505
	v_rcp_f32_e32 v6, v6                                       // 000000007BB8: 7E0C4506
	v_rcp_f32_e32 v7, v7                                       // 000000007BBC: 7E0E4507
	v_mul_f32_e32 v108, v108, v4                               // 000000007BC0: 0AD8096C
	v_mul_f32_e32 v109, v109, v5                               // 000000007BC4: 0ADA0B6D
	v_mul_f32_e32 v110, v110, v6                               // 000000007BC8: 0ADC0D6E
	v_mul_f32_e32 v111, v111, v7                               // 000000007BCC: 0ADE0F6F
	v_mul_f32_e32 v108, v108, v172                             // 000000007BD0: 0AD9596C
	v_mul_f32_e32 v109, v109, v173                             // 000000007BD4: 0ADB5B6D
	v_mul_f32_e32 v110, v110, v174                             // 000000007BD8: 0ADD5D6E
	v_mul_f32_e32 v111, v111, v175                             // 000000007BDC: 0ADF5F6F
	v_pk_mul_f32 v[4:5], v[112:113], v[112:113]                // 000000007BE0: D3B14004 1802E170
	v_pk_mul_f32 v[6:7], v[114:115], v[114:115]                // 000000007BE8: D3B14006 1802E572
	v_pk_fma_f32 v[4:5], v[4:5], s[78:79], v[8:9]              // 000000007BF0: D3B04004 1C209D04
	v_pk_fma_f32 v[6:7], v[6:7], s[78:79], v[8:9]              // 000000007BF8: D3B04006 1C209D06
	v_pk_mul_f32 v[4:5], v[4:5], v[112:113]                    // 000000007C00: D3B14004 1802E104
	v_pk_mul_f32 v[6:7], v[6:7], v[114:115]                    // 000000007C08: D3B14006 1802E506
	v_pk_mul_f32 v[4:5], v[4:5], s[60:61]                      // 000000007C10: D3B14004 18007904
	v_pk_mul_f32 v[6:7], v[6:7], s[60:61]                      // 000000007C18: D3B14006 18007906
	v_exp_f32_e32 v4, v4                                       // 000000007C20: 7E084104
	v_exp_f32_e32 v5, v5                                       // 000000007C24: 7E0A4105
	v_exp_f32_e32 v6, v6                                       // 000000007C28: 7E0C4106
	v_exp_f32_e32 v7, v7                                       // 000000007C2C: 7E0E4107
	v_add_f32_e64 v4, v4, 1.0                                  // 000000007C30: D1010004 0001E504
	v_add_f32_e64 v5, v5, 1.0                                  // 000000007C38: D1010005 0001E505
	v_add_f32_e64 v6, v6, 1.0                                  // 000000007C40: D1010006 0001E506
	v_add_f32_e64 v7, v7, 1.0                                  // 000000007C48: D1010007 0001E507
	v_rcp_f32_e32 v4, v4                                       // 000000007C50: 7E084504
	v_rcp_f32_e32 v5, v5                                       // 000000007C54: 7E0A4505
	v_rcp_f32_e32 v6, v6                                       // 000000007C58: 7E0C4506
	v_rcp_f32_e32 v7, v7                                       // 000000007C5C: 7E0E4507
	v_mul_f32_e32 v112, v112, v4                               // 000000007C60: 0AE00970
	v_mul_f32_e32 v113, v113, v5                               // 000000007C64: 0AE20B71
	v_mul_f32_e32 v114, v114, v6                               // 000000007C68: 0AE40D72
	v_mul_f32_e32 v115, v115, v7                               // 000000007C6C: 0AE60F73
	v_mul_f32_e32 v112, v112, v176                             // 000000007C70: 0AE16170
	v_mul_f32_e32 v113, v113, v177                             // 000000007C74: 0AE36371
	v_mul_f32_e32 v114, v114, v178                             // 000000007C78: 0AE56572
	v_mul_f32_e32 v115, v115, v179                             // 000000007C7C: 0AE76773
	v_pk_mul_f32 v[4:5], v[116:117], v[116:117]                // 000000007C80: D3B14004 1802E974
	v_pk_mul_f32 v[6:7], v[118:119], v[118:119]                // 000000007C88: D3B14006 1802ED76
	v_pk_fma_f32 v[4:5], v[4:5], s[78:79], v[8:9]              // 000000007C90: D3B04004 1C209D04
	v_pk_fma_f32 v[6:7], v[6:7], s[78:79], v[8:9]              // 000000007C98: D3B04006 1C209D06
	v_pk_mul_f32 v[4:5], v[4:5], v[116:117]                    // 000000007CA0: D3B14004 1802E904
	v_pk_mul_f32 v[6:7], v[6:7], v[118:119]                    // 000000007CA8: D3B14006 1802ED06
	v_pk_mul_f32 v[4:5], v[4:5], s[60:61]                      // 000000007CB0: D3B14004 18007904
	v_pk_mul_f32 v[6:7], v[6:7], s[60:61]                      // 000000007CB8: D3B14006 18007906
	v_exp_f32_e32 v4, v4                                       // 000000007CC0: 7E084104
	v_exp_f32_e32 v5, v5                                       // 000000007CC4: 7E0A4105
	v_exp_f32_e32 v6, v6                                       // 000000007CC8: 7E0C4106
	v_exp_f32_e32 v7, v7                                       // 000000007CCC: 7E0E4107
	v_add_f32_e64 v4, v4, 1.0                                  // 000000007CD0: D1010004 0001E504
	v_add_f32_e64 v5, v5, 1.0                                  // 000000007CD8: D1010005 0001E505
	v_add_f32_e64 v6, v6, 1.0                                  // 000000007CE0: D1010006 0001E506
	v_add_f32_e64 v7, v7, 1.0                                  // 000000007CE8: D1010007 0001E507
	v_rcp_f32_e32 v4, v4                                       // 000000007CF0: 7E084504
	v_rcp_f32_e32 v5, v5                                       // 000000007CF4: 7E0A4505
	v_rcp_f32_e32 v6, v6                                       // 000000007CF8: 7E0C4506
	v_rcp_f32_e32 v7, v7                                       // 000000007CFC: 7E0E4507
	v_mul_f32_e32 v116, v116, v4                               // 000000007D00: 0AE80974
	v_mul_f32_e32 v117, v117, v5                               // 000000007D04: 0AEA0B75
	v_mul_f32_e32 v118, v118, v6                               // 000000007D08: 0AEC0D76
	v_mul_f32_e32 v119, v119, v7                               // 000000007D0C: 0AEE0F77
	v_mul_f32_e32 v116, v116, v180                             // 000000007D10: 0AE96974
	v_mul_f32_e32 v117, v117, v181                             // 000000007D14: 0AEB6B75
	v_mul_f32_e32 v118, v118, v182                             // 000000007D18: 0AED6D76
	v_mul_f32_e32 v119, v119, v183                             // 000000007D1C: 0AEF6F77
	v_pk_mul_f32 v[4:5], v[120:121], v[120:121]                // 000000007D20: D3B14004 1802F178
	v_pk_mul_f32 v[6:7], v[122:123], v[122:123]                // 000000007D28: D3B14006 1802F57A
	v_pk_fma_f32 v[4:5], v[4:5], s[78:79], v[8:9]              // 000000007D30: D3B04004 1C209D04
	v_pk_fma_f32 v[6:7], v[6:7], s[78:79], v[8:9]              // 000000007D38: D3B04006 1C209D06
	v_pk_mul_f32 v[4:5], v[4:5], v[120:121]                    // 000000007D40: D3B14004 1802F104
	v_pk_mul_f32 v[6:7], v[6:7], v[122:123]                    // 000000007D48: D3B14006 1802F506
	v_pk_mul_f32 v[4:5], v[4:5], s[60:61]                      // 000000007D50: D3B14004 18007904
	v_pk_mul_f32 v[6:7], v[6:7], s[60:61]                      // 000000007D58: D3B14006 18007906
	v_exp_f32_e32 v4, v4                                       // 000000007D60: 7E084104
	v_exp_f32_e32 v5, v5                                       // 000000007D64: 7E0A4105
	v_exp_f32_e32 v6, v6                                       // 000000007D68: 7E0C4106
	v_exp_f32_e32 v7, v7                                       // 000000007D6C: 7E0E4107
	v_add_f32_e64 v4, v4, 1.0                                  // 000000007D70: D1010004 0001E504
	v_add_f32_e64 v5, v5, 1.0                                  // 000000007D78: D1010005 0001E505
	v_add_f32_e64 v6, v6, 1.0                                  // 000000007D80: D1010006 0001E506
	v_add_f32_e64 v7, v7, 1.0                                  // 000000007D88: D1010007 0001E507
	v_rcp_f32_e32 v4, v4                                       // 000000007D90: 7E084504
	v_rcp_f32_e32 v5, v5                                       // 000000007D94: 7E0A4505
	v_rcp_f32_e32 v6, v6                                       // 000000007D98: 7E0C4506
	v_rcp_f32_e32 v7, v7                                       // 000000007D9C: 7E0E4507
	v_mul_f32_e32 v120, v120, v4                               // 000000007DA0: 0AF00978
	v_mul_f32_e32 v121, v121, v5                               // 000000007DA4: 0AF20B79
	v_mul_f32_e32 v122, v122, v6                               // 000000007DA8: 0AF40D7A
	v_mul_f32_e32 v123, v123, v7                               // 000000007DAC: 0AF60F7B
	v_mul_f32_e32 v120, v120, v184                             // 000000007DB0: 0AF17178
	v_mul_f32_e32 v121, v121, v185                             // 000000007DB4: 0AF37379
	v_mul_f32_e32 v122, v122, v186                             // 000000007DB8: 0AF5757A
	v_mul_f32_e32 v123, v123, v187                             // 000000007DBC: 0AF7777B
	s_branch label_16F1                                        // 000000007DC0: BF820200

0000000000007dc4 <label_14F1>:
	v_mul_f32_e64 v4, -v60, s6                                 // 000000007DC4: D1050004 20000D3C
	v_mul_f32_e64 v5, -v61, s6                                 // 000000007DCC: D1050005 20000D3D
	v_mul_f32_e64 v6, -v62, s6                                 // 000000007DD4: D1050006 20000D3E
	v_mul_f32_e64 v7, -v63, s6                                 // 000000007DDC: D1050007 20000D3F
	v_exp_f32_e32 v4, v4                                       // 000000007DE4: 7E084104
	v_exp_f32_e32 v5, v5                                       // 000000007DE8: 7E0A4105
	v_exp_f32_e32 v6, v6                                       // 000000007DEC: 7E0C4106
	v_exp_f32_e32 v7, v7                                       // 000000007DF0: 7E0E4107
	v_add_f32_e64 v4, v4, 1.0                                  // 000000007DF4: D1010004 0001E504
	v_add_f32_e64 v5, v5, 1.0                                  // 000000007DFC: D1010005 0001E505
	v_add_f32_e64 v6, v6, 1.0                                  // 000000007E04: D1010006 0001E506
	v_add_f32_e64 v7, v7, 1.0                                  // 000000007E0C: D1010007 0001E507
	v_rcp_f32_e32 v4, v4                                       // 000000007E14: 7E084504
	v_rcp_f32_e32 v5, v5                                       // 000000007E18: 7E0A4505
	v_rcp_f32_e32 v6, v6                                       // 000000007E1C: 7E0C4506
	v_rcp_f32_e32 v7, v7                                       // 000000007E20: 7E0E4507
	v_mul_f32_e32 v60, v60, v4                                 // 000000007E24: 0A78093C
	v_mul_f32_e32 v61, v61, v5                                 // 000000007E28: 0A7A0B3D
	v_mul_f32_e32 v62, v62, v6                                 // 000000007E2C: 0A7C0D3E
	v_mul_f32_e32 v63, v63, v7                                 // 000000007E30: 0A7E0F3F
	v_mul_f32_e32 v60, v60, v124                               // 000000007E34: 0A78F93C
	v_mul_f32_e32 v61, v61, v125                               // 000000007E38: 0A7AFB3D
	v_mul_f32_e32 v62, v62, v126                               // 000000007E3C: 0A7CFD3E
	v_mul_f32_e32 v63, v63, v127                               // 000000007E40: 0A7EFF3F
	v_mul_f32_e64 v4, -v64, s6                                 // 000000007E44: D1050004 20000D40
	v_mul_f32_e64 v5, -v65, s6                                 // 000000007E4C: D1050005 20000D41
	v_mul_f32_e64 v6, -v66, s6                                 // 000000007E54: D1050006 20000D42
	v_mul_f32_e64 v7, -v67, s6                                 // 000000007E5C: D1050007 20000D43
	v_exp_f32_e32 v4, v4                                       // 000000007E64: 7E084104
	v_exp_f32_e32 v5, v5                                       // 000000007E68: 7E0A4105
	v_exp_f32_e32 v6, v6                                       // 000000007E6C: 7E0C4106
	v_exp_f32_e32 v7, v7                                       // 000000007E70: 7E0E4107
	v_add_f32_e64 v4, v4, 1.0                                  // 000000007E74: D1010004 0001E504
	v_add_f32_e64 v5, v5, 1.0                                  // 000000007E7C: D1010005 0001E505
	v_add_f32_e64 v6, v6, 1.0                                  // 000000007E84: D1010006 0001E506
	v_add_f32_e64 v7, v7, 1.0                                  // 000000007E8C: D1010007 0001E507
	v_rcp_f32_e32 v4, v4                                       // 000000007E94: 7E084504
	v_rcp_f32_e32 v5, v5                                       // 000000007E98: 7E0A4505
	v_rcp_f32_e32 v6, v6                                       // 000000007E9C: 7E0C4506
	v_rcp_f32_e32 v7, v7                                       // 000000007EA0: 7E0E4507
	v_mul_f32_e32 v64, v64, v4                                 // 000000007EA4: 0A800940
	v_mul_f32_e32 v65, v65, v5                                 // 000000007EA8: 0A820B41
	v_mul_f32_e32 v66, v66, v6                                 // 000000007EAC: 0A840D42
	v_mul_f32_e32 v67, v67, v7                                 // 000000007EB0: 0A860F43
	v_mul_f32_e32 v64, v64, v128                               // 000000007EB4: 0A810140
	v_mul_f32_e32 v65, v65, v129                               // 000000007EB8: 0A830341
	v_mul_f32_e32 v66, v66, v130                               // 000000007EBC: 0A850542
	v_mul_f32_e32 v67, v67, v131                               // 000000007EC0: 0A870743
	v_mul_f32_e64 v4, -v68, s6                                 // 000000007EC4: D1050004 20000D44
	v_mul_f32_e64 v5, -v69, s6                                 // 000000007ECC: D1050005 20000D45
	v_mul_f32_e64 v6, -v70, s6                                 // 000000007ED4: D1050006 20000D46
	v_mul_f32_e64 v7, -v71, s6                                 // 000000007EDC: D1050007 20000D47
	v_exp_f32_e32 v4, v4                                       // 000000007EE4: 7E084104
	v_exp_f32_e32 v5, v5                                       // 000000007EE8: 7E0A4105
	v_exp_f32_e32 v6, v6                                       // 000000007EEC: 7E0C4106
	v_exp_f32_e32 v7, v7                                       // 000000007EF0: 7E0E4107
	v_add_f32_e64 v4, v4, 1.0                                  // 000000007EF4: D1010004 0001E504
	v_add_f32_e64 v5, v5, 1.0                                  // 000000007EFC: D1010005 0001E505
	v_add_f32_e64 v6, v6, 1.0                                  // 000000007F04: D1010006 0001E506
	v_add_f32_e64 v7, v7, 1.0                                  // 000000007F0C: D1010007 0001E507
	v_rcp_f32_e32 v4, v4                                       // 000000007F14: 7E084504
	v_rcp_f32_e32 v5, v5                                       // 000000007F18: 7E0A4505
	v_rcp_f32_e32 v6, v6                                       // 000000007F1C: 7E0C4506
	v_rcp_f32_e32 v7, v7                                       // 000000007F20: 7E0E4507
	v_mul_f32_e32 v68, v68, v4                                 // 000000007F24: 0A880944
	v_mul_f32_e32 v69, v69, v5                                 // 000000007F28: 0A8A0B45
	v_mul_f32_e32 v70, v70, v6                                 // 000000007F2C: 0A8C0D46
	v_mul_f32_e32 v71, v71, v7                                 // 000000007F30: 0A8E0F47
	v_mul_f32_e32 v68, v68, v132                               // 000000007F34: 0A890944
	v_mul_f32_e32 v69, v69, v133                               // 000000007F38: 0A8B0B45
	v_mul_f32_e32 v70, v70, v134                               // 000000007F3C: 0A8D0D46
	v_mul_f32_e32 v71, v71, v135                               // 000000007F40: 0A8F0F47
	v_mul_f32_e64 v4, -v72, s6                                 // 000000007F44: D1050004 20000D48
	v_mul_f32_e64 v5, -v73, s6                                 // 000000007F4C: D1050005 20000D49
	v_mul_f32_e64 v6, -v74, s6                                 // 000000007F54: D1050006 20000D4A
	v_mul_f32_e64 v7, -v75, s6                                 // 000000007F5C: D1050007 20000D4B
	v_exp_f32_e32 v4, v4                                       // 000000007F64: 7E084104
	v_exp_f32_e32 v5, v5                                       // 000000007F68: 7E0A4105
	v_exp_f32_e32 v6, v6                                       // 000000007F6C: 7E0C4106
	v_exp_f32_e32 v7, v7                                       // 000000007F70: 7E0E4107
	v_add_f32_e64 v4, v4, 1.0                                  // 000000007F74: D1010004 0001E504
	v_add_f32_e64 v5, v5, 1.0                                  // 000000007F7C: D1010005 0001E505
	v_add_f32_e64 v6, v6, 1.0                                  // 000000007F84: D1010006 0001E506
	v_add_f32_e64 v7, v7, 1.0                                  // 000000007F8C: D1010007 0001E507
	v_rcp_f32_e32 v4, v4                                       // 000000007F94: 7E084504
	v_rcp_f32_e32 v5, v5                                       // 000000007F98: 7E0A4505
	v_rcp_f32_e32 v6, v6                                       // 000000007F9C: 7E0C4506
	v_rcp_f32_e32 v7, v7                                       // 000000007FA0: 7E0E4507
	v_mul_f32_e32 v72, v72, v4                                 // 000000007FA4: 0A900948
	v_mul_f32_e32 v73, v73, v5                                 // 000000007FA8: 0A920B49
	v_mul_f32_e32 v74, v74, v6                                 // 000000007FAC: 0A940D4A
	v_mul_f32_e32 v75, v75, v7                                 // 000000007FB0: 0A960F4B
	v_mul_f32_e32 v72, v72, v136                               // 000000007FB4: 0A911148
	v_mul_f32_e32 v73, v73, v137                               // 000000007FB8: 0A931349
	v_mul_f32_e32 v74, v74, v138                               // 000000007FBC: 0A95154A
	v_mul_f32_e32 v75, v75, v139                               // 000000007FC0: 0A97174B
	v_mul_f32_e64 v4, -v76, s6                                 // 000000007FC4: D1050004 20000D4C
	v_mul_f32_e64 v5, -v77, s6                                 // 000000007FCC: D1050005 20000D4D
	v_mul_f32_e64 v6, -v78, s6                                 // 000000007FD4: D1050006 20000D4E
	v_mul_f32_e64 v7, -v79, s6                                 // 000000007FDC: D1050007 20000D4F
	v_exp_f32_e32 v4, v4                                       // 000000007FE4: 7E084104
	v_exp_f32_e32 v5, v5                                       // 000000007FE8: 7E0A4105
	v_exp_f32_e32 v6, v6                                       // 000000007FEC: 7E0C4106
	v_exp_f32_e32 v7, v7                                       // 000000007FF0: 7E0E4107
	v_add_f32_e64 v4, v4, 1.0                                  // 000000007FF4: D1010004 0001E504
	v_add_f32_e64 v5, v5, 1.0                                  // 000000007FFC: D1010005 0001E505
	v_add_f32_e64 v6, v6, 1.0                                  // 000000008004: D1010006 0001E506
	v_add_f32_e64 v7, v7, 1.0                                  // 00000000800C: D1010007 0001E507
	v_rcp_f32_e32 v4, v4                                       // 000000008014: 7E084504
	v_rcp_f32_e32 v5, v5                                       // 000000008018: 7E0A4505
	v_rcp_f32_e32 v6, v6                                       // 00000000801C: 7E0C4506
	v_rcp_f32_e32 v7, v7                                       // 000000008020: 7E0E4507
	v_mul_f32_e32 v76, v76, v4                                 // 000000008024: 0A98094C
	v_mul_f32_e32 v77, v77, v5                                 // 000000008028: 0A9A0B4D
	v_mul_f32_e32 v78, v78, v6                                 // 00000000802C: 0A9C0D4E
	v_mul_f32_e32 v79, v79, v7                                 // 000000008030: 0A9E0F4F
	v_mul_f32_e32 v76, v76, v140                               // 000000008034: 0A99194C
	v_mul_f32_e32 v77, v77, v141                               // 000000008038: 0A9B1B4D
	v_mul_f32_e32 v78, v78, v142                               // 00000000803C: 0A9D1D4E
	v_mul_f32_e32 v79, v79, v143                               // 000000008040: 0A9F1F4F
	v_mul_f32_e64 v4, -v80, s6                                 // 000000008044: D1050004 20000D50
	v_mul_f32_e64 v5, -v81, s6                                 // 00000000804C: D1050005 20000D51
	v_mul_f32_e64 v6, -v82, s6                                 // 000000008054: D1050006 20000D52
	v_mul_f32_e64 v7, -v83, s6                                 // 00000000805C: D1050007 20000D53
	v_exp_f32_e32 v4, v4                                       // 000000008064: 7E084104
	v_exp_f32_e32 v5, v5                                       // 000000008068: 7E0A4105
	v_exp_f32_e32 v6, v6                                       // 00000000806C: 7E0C4106
	v_exp_f32_e32 v7, v7                                       // 000000008070: 7E0E4107
	v_add_f32_e64 v4, v4, 1.0                                  // 000000008074: D1010004 0001E504
	v_add_f32_e64 v5, v5, 1.0                                  // 00000000807C: D1010005 0001E505
	v_add_f32_e64 v6, v6, 1.0                                  // 000000008084: D1010006 0001E506
	v_add_f32_e64 v7, v7, 1.0                                  // 00000000808C: D1010007 0001E507
	v_rcp_f32_e32 v4, v4                                       // 000000008094: 7E084504
	v_rcp_f32_e32 v5, v5                                       // 000000008098: 7E0A4505
	v_rcp_f32_e32 v6, v6                                       // 00000000809C: 7E0C4506
	v_rcp_f32_e32 v7, v7                                       // 0000000080A0: 7E0E4507
	v_mul_f32_e32 v80, v80, v4                                 // 0000000080A4: 0AA00950
	v_mul_f32_e32 v81, v81, v5                                 // 0000000080A8: 0AA20B51
	v_mul_f32_e32 v82, v82, v6                                 // 0000000080AC: 0AA40D52
	v_mul_f32_e32 v83, v83, v7                                 // 0000000080B0: 0AA60F53
	v_mul_f32_e32 v80, v80, v144                               // 0000000080B4: 0AA12150
	v_mul_f32_e32 v81, v81, v145                               // 0000000080B8: 0AA32351
	v_mul_f32_e32 v82, v82, v146                               // 0000000080BC: 0AA52552
	v_mul_f32_e32 v83, v83, v147                               // 0000000080C0: 0AA72753
	v_mul_f32_e64 v4, -v84, s6                                 // 0000000080C4: D1050004 20000D54
	v_mul_f32_e64 v5, -v85, s6                                 // 0000000080CC: D1050005 20000D55
	v_mul_f32_e64 v6, -v86, s6                                 // 0000000080D4: D1050006 20000D56
	v_mul_f32_e64 v7, -v87, s6                                 // 0000000080DC: D1050007 20000D57
	v_exp_f32_e32 v4, v4                                       // 0000000080E4: 7E084104
	v_exp_f32_e32 v5, v5                                       // 0000000080E8: 7E0A4105
	v_exp_f32_e32 v6, v6                                       // 0000000080EC: 7E0C4106
	v_exp_f32_e32 v7, v7                                       // 0000000080F0: 7E0E4107
	v_add_f32_e64 v4, v4, 1.0                                  // 0000000080F4: D1010004 0001E504
	v_add_f32_e64 v5, v5, 1.0                                  // 0000000080FC: D1010005 0001E505
	v_add_f32_e64 v6, v6, 1.0                                  // 000000008104: D1010006 0001E506
	v_add_f32_e64 v7, v7, 1.0                                  // 00000000810C: D1010007 0001E507
	v_rcp_f32_e32 v4, v4                                       // 000000008114: 7E084504
	v_rcp_f32_e32 v5, v5                                       // 000000008118: 7E0A4505
	v_rcp_f32_e32 v6, v6                                       // 00000000811C: 7E0C4506
	v_rcp_f32_e32 v7, v7                                       // 000000008120: 7E0E4507
	v_mul_f32_e32 v84, v84, v4                                 // 000000008124: 0AA80954
	v_mul_f32_e32 v85, v85, v5                                 // 000000008128: 0AAA0B55
	v_mul_f32_e32 v86, v86, v6                                 // 00000000812C: 0AAC0D56
	v_mul_f32_e32 v87, v87, v7                                 // 000000008130: 0AAE0F57
	v_mul_f32_e32 v84, v84, v148                               // 000000008134: 0AA92954
	v_mul_f32_e32 v85, v85, v149                               // 000000008138: 0AAB2B55
	v_mul_f32_e32 v86, v86, v150                               // 00000000813C: 0AAD2D56
	v_mul_f32_e32 v87, v87, v151                               // 000000008140: 0AAF2F57
	v_mul_f32_e64 v4, -v88, s6                                 // 000000008144: D1050004 20000D58
	v_mul_f32_e64 v5, -v89, s6                                 // 00000000814C: D1050005 20000D59
	v_mul_f32_e64 v6, -v90, s6                                 // 000000008154: D1050006 20000D5A
	v_mul_f32_e64 v7, -v91, s6                                 // 00000000815C: D1050007 20000D5B
	v_exp_f32_e32 v4, v4                                       // 000000008164: 7E084104
	v_exp_f32_e32 v5, v5                                       // 000000008168: 7E0A4105
	v_exp_f32_e32 v6, v6                                       // 00000000816C: 7E0C4106
	v_exp_f32_e32 v7, v7                                       // 000000008170: 7E0E4107
	v_add_f32_e64 v4, v4, 1.0                                  // 000000008174: D1010004 0001E504
	v_add_f32_e64 v5, v5, 1.0                                  // 00000000817C: D1010005 0001E505
	v_add_f32_e64 v6, v6, 1.0                                  // 000000008184: D1010006 0001E506
	v_add_f32_e64 v7, v7, 1.0                                  // 00000000818C: D1010007 0001E507
	v_rcp_f32_e32 v4, v4                                       // 000000008194: 7E084504
	v_rcp_f32_e32 v5, v5                                       // 000000008198: 7E0A4505
	v_rcp_f32_e32 v6, v6                                       // 00000000819C: 7E0C4506
	v_rcp_f32_e32 v7, v7                                       // 0000000081A0: 7E0E4507
	v_mul_f32_e32 v88, v88, v4                                 // 0000000081A4: 0AB00958
	v_mul_f32_e32 v89, v89, v5                                 // 0000000081A8: 0AB20B59
	v_mul_f32_e32 v90, v90, v6                                 // 0000000081AC: 0AB40D5A
	v_mul_f32_e32 v91, v91, v7                                 // 0000000081B0: 0AB60F5B
	v_mul_f32_e32 v88, v88, v152                               // 0000000081B4: 0AB13158
	v_mul_f32_e32 v89, v89, v153                               // 0000000081B8: 0AB33359
	v_mul_f32_e32 v90, v90, v154                               // 0000000081BC: 0AB5355A
	v_mul_f32_e32 v91, v91, v155                               // 0000000081C0: 0AB7375B
	v_mul_f32_e64 v4, -v92, s6                                 // 0000000081C4: D1050004 20000D5C
	v_mul_f32_e64 v5, -v93, s6                                 // 0000000081CC: D1050005 20000D5D
	v_mul_f32_e64 v6, -v94, s6                                 // 0000000081D4: D1050006 20000D5E
	v_mul_f32_e64 v7, -v95, s6                                 // 0000000081DC: D1050007 20000D5F
	v_exp_f32_e32 v4, v4                                       // 0000000081E4: 7E084104
	v_exp_f32_e32 v5, v5                                       // 0000000081E8: 7E0A4105
	v_exp_f32_e32 v6, v6                                       // 0000000081EC: 7E0C4106
	v_exp_f32_e32 v7, v7                                       // 0000000081F0: 7E0E4107
	v_add_f32_e64 v4, v4, 1.0                                  // 0000000081F4: D1010004 0001E504
	v_add_f32_e64 v5, v5, 1.0                                  // 0000000081FC: D1010005 0001E505
	v_add_f32_e64 v6, v6, 1.0                                  // 000000008204: D1010006 0001E506
	v_add_f32_e64 v7, v7, 1.0                                  // 00000000820C: D1010007 0001E507
	v_rcp_f32_e32 v4, v4                                       // 000000008214: 7E084504
	v_rcp_f32_e32 v5, v5                                       // 000000008218: 7E0A4505
	v_rcp_f32_e32 v6, v6                                       // 00000000821C: 7E0C4506
	v_rcp_f32_e32 v7, v7                                       // 000000008220: 7E0E4507
	v_mul_f32_e32 v92, v92, v4                                 // 000000008224: 0AB8095C
	v_mul_f32_e32 v93, v93, v5                                 // 000000008228: 0ABA0B5D
	v_mul_f32_e32 v94, v94, v6                                 // 00000000822C: 0ABC0D5E
	v_mul_f32_e32 v95, v95, v7                                 // 000000008230: 0ABE0F5F
	v_mul_f32_e32 v92, v92, v156                               // 000000008234: 0AB9395C
	v_mul_f32_e32 v93, v93, v157                               // 000000008238: 0ABB3B5D
	v_mul_f32_e32 v94, v94, v158                               // 00000000823C: 0ABD3D5E
	v_mul_f32_e32 v95, v95, v159                               // 000000008240: 0ABF3F5F
	v_mul_f32_e64 v4, -v96, s6                                 // 000000008244: D1050004 20000D60
	v_mul_f32_e64 v5, -v97, s6                                 // 00000000824C: D1050005 20000D61
	v_mul_f32_e64 v6, -v98, s6                                 // 000000008254: D1050006 20000D62
	v_mul_f32_e64 v7, -v99, s6                                 // 00000000825C: D1050007 20000D63
	v_exp_f32_e32 v4, v4                                       // 000000008264: 7E084104
	v_exp_f32_e32 v5, v5                                       // 000000008268: 7E0A4105
	v_exp_f32_e32 v6, v6                                       // 00000000826C: 7E0C4106
	v_exp_f32_e32 v7, v7                                       // 000000008270: 7E0E4107
	v_add_f32_e64 v4, v4, 1.0                                  // 000000008274: D1010004 0001E504
	v_add_f32_e64 v5, v5, 1.0                                  // 00000000827C: D1010005 0001E505
	v_add_f32_e64 v6, v6, 1.0                                  // 000000008284: D1010006 0001E506
	v_add_f32_e64 v7, v7, 1.0                                  // 00000000828C: D1010007 0001E507
	v_rcp_f32_e32 v4, v4                                       // 000000008294: 7E084504
	v_rcp_f32_e32 v5, v5                                       // 000000008298: 7E0A4505
	v_rcp_f32_e32 v6, v6                                       // 00000000829C: 7E0C4506
	v_rcp_f32_e32 v7, v7                                       // 0000000082A0: 7E0E4507
	v_mul_f32_e32 v96, v96, v4                                 // 0000000082A4: 0AC00960
	v_mul_f32_e32 v97, v97, v5                                 // 0000000082A8: 0AC20B61
	v_mul_f32_e32 v98, v98, v6                                 // 0000000082AC: 0AC40D62
	v_mul_f32_e32 v99, v99, v7                                 // 0000000082B0: 0AC60F63
	v_mul_f32_e32 v96, v96, v160                               // 0000000082B4: 0AC14160
	v_mul_f32_e32 v97, v97, v161                               // 0000000082B8: 0AC34361
	v_mul_f32_e32 v98, v98, v162                               // 0000000082BC: 0AC54562
	v_mul_f32_e32 v99, v99, v163                               // 0000000082C0: 0AC74763
	v_mul_f32_e64 v4, -v100, s6                                // 0000000082C4: D1050004 20000D64
	v_mul_f32_e64 v5, -v101, s6                                // 0000000082CC: D1050005 20000D65
	v_mul_f32_e64 v6, -v102, s6                                // 0000000082D4: D1050006 20000D66
	v_mul_f32_e64 v7, -v103, s6                                // 0000000082DC: D1050007 20000D67
	v_exp_f32_e32 v4, v4                                       // 0000000082E4: 7E084104
	v_exp_f32_e32 v5, v5                                       // 0000000082E8: 7E0A4105
	v_exp_f32_e32 v6, v6                                       // 0000000082EC: 7E0C4106
	v_exp_f32_e32 v7, v7                                       // 0000000082F0: 7E0E4107
	v_add_f32_e64 v4, v4, 1.0                                  // 0000000082F4: D1010004 0001E504
	v_add_f32_e64 v5, v5, 1.0                                  // 0000000082FC: D1010005 0001E505
	v_add_f32_e64 v6, v6, 1.0                                  // 000000008304: D1010006 0001E506
	v_add_f32_e64 v7, v7, 1.0                                  // 00000000830C: D1010007 0001E507
	v_rcp_f32_e32 v4, v4                                       // 000000008314: 7E084504
	v_rcp_f32_e32 v5, v5                                       // 000000008318: 7E0A4505
	v_rcp_f32_e32 v6, v6                                       // 00000000831C: 7E0C4506
	v_rcp_f32_e32 v7, v7                                       // 000000008320: 7E0E4507
	v_mul_f32_e32 v100, v100, v4                               // 000000008324: 0AC80964
	v_mul_f32_e32 v101, v101, v5                               // 000000008328: 0ACA0B65
	v_mul_f32_e32 v102, v102, v6                               // 00000000832C: 0ACC0D66
	v_mul_f32_e32 v103, v103, v7                               // 000000008330: 0ACE0F67
	v_mul_f32_e32 v100, v100, v164                             // 000000008334: 0AC94964
	v_mul_f32_e32 v101, v101, v165                             // 000000008338: 0ACB4B65
	v_mul_f32_e32 v102, v102, v166                             // 00000000833C: 0ACD4D66
	v_mul_f32_e32 v103, v103, v167                             // 000000008340: 0ACF4F67
	v_mul_f32_e64 v4, -v104, s6                                // 000000008344: D1050004 20000D68
	v_mul_f32_e64 v5, -v105, s6                                // 00000000834C: D1050005 20000D69
	v_mul_f32_e64 v6, -v106, s6                                // 000000008354: D1050006 20000D6A
	v_mul_f32_e64 v7, -v107, s6                                // 00000000835C: D1050007 20000D6B
	v_exp_f32_e32 v4, v4                                       // 000000008364: 7E084104
	v_exp_f32_e32 v5, v5                                       // 000000008368: 7E0A4105
	v_exp_f32_e32 v6, v6                                       // 00000000836C: 7E0C4106
	v_exp_f32_e32 v7, v7                                       // 000000008370: 7E0E4107
	v_add_f32_e64 v4, v4, 1.0                                  // 000000008374: D1010004 0001E504
	v_add_f32_e64 v5, v5, 1.0                                  // 00000000837C: D1010005 0001E505
	v_add_f32_e64 v6, v6, 1.0                                  // 000000008384: D1010006 0001E506
	v_add_f32_e64 v7, v7, 1.0                                  // 00000000838C: D1010007 0001E507
	v_rcp_f32_e32 v4, v4                                       // 000000008394: 7E084504
	v_rcp_f32_e32 v5, v5                                       // 000000008398: 7E0A4505
	v_rcp_f32_e32 v6, v6                                       // 00000000839C: 7E0C4506
	v_rcp_f32_e32 v7, v7                                       // 0000000083A0: 7E0E4507
	v_mul_f32_e32 v104, v104, v4                               // 0000000083A4: 0AD00968
	v_mul_f32_e32 v105, v105, v5                               // 0000000083A8: 0AD20B69
	v_mul_f32_e32 v106, v106, v6                               // 0000000083AC: 0AD40D6A
	v_mul_f32_e32 v107, v107, v7                               // 0000000083B0: 0AD60F6B
	v_mul_f32_e32 v104, v104, v168                             // 0000000083B4: 0AD15168
	v_mul_f32_e32 v105, v105, v169                             // 0000000083B8: 0AD35369
	v_mul_f32_e32 v106, v106, v170                             // 0000000083BC: 0AD5556A
	v_mul_f32_e32 v107, v107, v171                             // 0000000083C0: 0AD7576B
	v_mul_f32_e64 v4, -v108, s6                                // 0000000083C4: D1050004 20000D6C
	v_mul_f32_e64 v5, -v109, s6                                // 0000000083CC: D1050005 20000D6D
	v_mul_f32_e64 v6, -v110, s6                                // 0000000083D4: D1050006 20000D6E
	v_mul_f32_e64 v7, -v111, s6                                // 0000000083DC: D1050007 20000D6F
	v_exp_f32_e32 v4, v4                                       // 0000000083E4: 7E084104
	v_exp_f32_e32 v5, v5                                       // 0000000083E8: 7E0A4105
	v_exp_f32_e32 v6, v6                                       // 0000000083EC: 7E0C4106
	v_exp_f32_e32 v7, v7                                       // 0000000083F0: 7E0E4107
	v_add_f32_e64 v4, v4, 1.0                                  // 0000000083F4: D1010004 0001E504
	v_add_f32_e64 v5, v5, 1.0                                  // 0000000083FC: D1010005 0001E505
	v_add_f32_e64 v6, v6, 1.0                                  // 000000008404: D1010006 0001E506
	v_add_f32_e64 v7, v7, 1.0                                  // 00000000840C: D1010007 0001E507
	v_rcp_f32_e32 v4, v4                                       // 000000008414: 7E084504
	v_rcp_f32_e32 v5, v5                                       // 000000008418: 7E0A4505
	v_rcp_f32_e32 v6, v6                                       // 00000000841C: 7E0C4506
	v_rcp_f32_e32 v7, v7                                       // 000000008420: 7E0E4507
	v_mul_f32_e32 v108, v108, v4                               // 000000008424: 0AD8096C
	v_mul_f32_e32 v109, v109, v5                               // 000000008428: 0ADA0B6D
	v_mul_f32_e32 v110, v110, v6                               // 00000000842C: 0ADC0D6E
	v_mul_f32_e32 v111, v111, v7                               // 000000008430: 0ADE0F6F
	v_mul_f32_e32 v108, v108, v172                             // 000000008434: 0AD9596C
	v_mul_f32_e32 v109, v109, v173                             // 000000008438: 0ADB5B6D
	v_mul_f32_e32 v110, v110, v174                             // 00000000843C: 0ADD5D6E
	v_mul_f32_e32 v111, v111, v175                             // 000000008440: 0ADF5F6F
	v_mul_f32_e64 v4, -v112, s6                                // 000000008444: D1050004 20000D70
	v_mul_f32_e64 v5, -v113, s6                                // 00000000844C: D1050005 20000D71
	v_mul_f32_e64 v6, -v114, s6                                // 000000008454: D1050006 20000D72
	v_mul_f32_e64 v7, -v115, s6                                // 00000000845C: D1050007 20000D73
	v_exp_f32_e32 v4, v4                                       // 000000008464: 7E084104
	v_exp_f32_e32 v5, v5                                       // 000000008468: 7E0A4105
	v_exp_f32_e32 v6, v6                                       // 00000000846C: 7E0C4106
	v_exp_f32_e32 v7, v7                                       // 000000008470: 7E0E4107
	v_add_f32_e64 v4, v4, 1.0                                  // 000000008474: D1010004 0001E504
	v_add_f32_e64 v5, v5, 1.0                                  // 00000000847C: D1010005 0001E505
	v_add_f32_e64 v6, v6, 1.0                                  // 000000008484: D1010006 0001E506
	v_add_f32_e64 v7, v7, 1.0                                  // 00000000848C: D1010007 0001E507
	v_rcp_f32_e32 v4, v4                                       // 000000008494: 7E084504
	v_rcp_f32_e32 v5, v5                                       // 000000008498: 7E0A4505
	v_rcp_f32_e32 v6, v6                                       // 00000000849C: 7E0C4506
	v_rcp_f32_e32 v7, v7                                       // 0000000084A0: 7E0E4507
	v_mul_f32_e32 v112, v112, v4                               // 0000000084A4: 0AE00970
	v_mul_f32_e32 v113, v113, v5                               // 0000000084A8: 0AE20B71
	v_mul_f32_e32 v114, v114, v6                               // 0000000084AC: 0AE40D72
	v_mul_f32_e32 v115, v115, v7                               // 0000000084B0: 0AE60F73
	v_mul_f32_e32 v112, v112, v176                             // 0000000084B4: 0AE16170
	v_mul_f32_e32 v113, v113, v177                             // 0000000084B8: 0AE36371
	v_mul_f32_e32 v114, v114, v178                             // 0000000084BC: 0AE56572
	v_mul_f32_e32 v115, v115, v179                             // 0000000084C0: 0AE76773
	v_mul_f32_e64 v4, -v116, s6                                // 0000000084C4: D1050004 20000D74
	v_mul_f32_e64 v5, -v117, s6                                // 0000000084CC: D1050005 20000D75
	v_mul_f32_e64 v6, -v118, s6                                // 0000000084D4: D1050006 20000D76
	v_mul_f32_e64 v7, -v119, s6                                // 0000000084DC: D1050007 20000D77
	v_exp_f32_e32 v4, v4                                       // 0000000084E4: 7E084104
	v_exp_f32_e32 v5, v5                                       // 0000000084E8: 7E0A4105
	v_exp_f32_e32 v6, v6                                       // 0000000084EC: 7E0C4106
	v_exp_f32_e32 v7, v7                                       // 0000000084F0: 7E0E4107
	v_add_f32_e64 v4, v4, 1.0                                  // 0000000084F4: D1010004 0001E504
	v_add_f32_e64 v5, v5, 1.0                                  // 0000000084FC: D1010005 0001E505
	v_add_f32_e64 v6, v6, 1.0                                  // 000000008504: D1010006 0001E506
	v_add_f32_e64 v7, v7, 1.0                                  // 00000000850C: D1010007 0001E507
	v_rcp_f32_e32 v4, v4                                       // 000000008514: 7E084504
	v_rcp_f32_e32 v5, v5                                       // 000000008518: 7E0A4505
	v_rcp_f32_e32 v6, v6                                       // 00000000851C: 7E0C4506
	v_rcp_f32_e32 v7, v7                                       // 000000008520: 7E0E4507
	v_mul_f32_e32 v116, v116, v4                               // 000000008524: 0AE80974
	v_mul_f32_e32 v117, v117, v5                               // 000000008528: 0AEA0B75
	v_mul_f32_e32 v118, v118, v6                               // 00000000852C: 0AEC0D76
	v_mul_f32_e32 v119, v119, v7                               // 000000008530: 0AEE0F77
	v_mul_f32_e32 v116, v116, v180                             // 000000008534: 0AE96974
	v_mul_f32_e32 v117, v117, v181                             // 000000008538: 0AEB6B75
	v_mul_f32_e32 v118, v118, v182                             // 00000000853C: 0AED6D76
	v_mul_f32_e32 v119, v119, v183                             // 000000008540: 0AEF6F77
	v_mul_f32_e64 v4, -v120, s6                                // 000000008544: D1050004 20000D78
	v_mul_f32_e64 v5, -v121, s6                                // 00000000854C: D1050005 20000D79
	v_mul_f32_e64 v6, -v122, s6                                // 000000008554: D1050006 20000D7A
	v_mul_f32_e64 v7, -v123, s6                                // 00000000855C: D1050007 20000D7B
	v_exp_f32_e32 v4, v4                                       // 000000008564: 7E084104
	v_exp_f32_e32 v5, v5                                       // 000000008568: 7E0A4105
	v_exp_f32_e32 v6, v6                                       // 00000000856C: 7E0C4106
	v_exp_f32_e32 v7, v7                                       // 000000008570: 7E0E4107
	v_add_f32_e64 v4, v4, 1.0                                  // 000000008574: D1010004 0001E504
	v_add_f32_e64 v5, v5, 1.0                                  // 00000000857C: D1010005 0001E505
	v_add_f32_e64 v6, v6, 1.0                                  // 000000008584: D1010006 0001E506
	v_add_f32_e64 v7, v7, 1.0                                  // 00000000858C: D1010007 0001E507
	v_rcp_f32_e32 v4, v4                                       // 000000008594: 7E084504
	v_rcp_f32_e32 v5, v5                                       // 000000008598: 7E0A4505
	v_rcp_f32_e32 v6, v6                                       // 00000000859C: 7E0C4506
	v_rcp_f32_e32 v7, v7                                       // 0000000085A0: 7E0E4507
	v_mul_f32_e32 v120, v120, v4                               // 0000000085A4: 0AF00978
	v_mul_f32_e32 v121, v121, v5                               // 0000000085A8: 0AF20B79
	v_mul_f32_e32 v122, v122, v6                               // 0000000085AC: 0AF40D7A
	v_mul_f32_e32 v123, v123, v7                               // 0000000085B0: 0AF60F7B
	v_mul_f32_e32 v120, v120, v184                             // 0000000085B4: 0AF17178
	v_mul_f32_e32 v121, v121, v185                             // 0000000085B8: 0AF37379
	v_mul_f32_e32 v122, v122, v186                             // 0000000085BC: 0AF5757A
	v_mul_f32_e32 v123, v123, v187                             // 0000000085C0: 0AF7777B

00000000000085c4 <label_16F1>:
	s_cmp_eq_u32 s7, 0                                         // 0000000085C4: BF068007
	s_cbranch_scc0 label_1701                                  // 0000000085C8: BF84000E
	v_and_b32_e32 v4, 15, v0                                   // 0000000085CC: 2608008F
	v_lshlrev_b32_e32 v4, 2, v4                                // 0000000085D0: 24080882
	buffer_load_dword v30, v4, s[12:15], 0 offen               // 0000000085D4: E0501000 80031E04
	v_add_u32_e32 v4, 64, v4                                   // 0000000085DC: 680808C0
	buffer_load_dword v31, v4, s[12:15], 0 offen               // 0000000085E0: E0501000 80031F04
	v_add_u32_e32 v4, 64, v4                                   // 0000000085E8: 680808C0
	buffer_load_dword v32, v4, s[12:15], 0 offen               // 0000000085EC: E0501000 80032004
	v_add_u32_e32 v4, 64, v4                                   // 0000000085F4: 680808C0
	buffer_load_dword v33, v4, s[12:15], 0 offen               // 0000000085F8: E0501000 80032104
	v_add_u32_e32 v4, 64, v4                                   // 000000008600: 680808C0

0000000000008604 <label_1701>:
	v_lshlrev_b32_e32 v4, 2, v0                                // 000000008604: 24080082
	s_mul_i32 s60, 0x100, s7                                   // 000000008608: 923C07FF 00000100
	v_add_u32_e32 v132, s60, v4                                // 000000008610: 6908083C
	v_and_b32_e32 v4, 15, v0                                   // 000000008614: 2608008F
	v_lshlrev_b32_e32 v133, 2, v4                              // 000000008618: 250A0882
	s_waitcnt lgkmcnt(0)                                       // 00000000861C: BF8CC07F
	s_barrier                                                  // 000000008620: BF8A0000
	v_mov_b32_e32 v124, 0x358637bd                             // 000000008624: 7EF802FF 358637BD
	v_max3_f32 v124, |v60|, |v61|, v124                        // 00000000862C: D1D3037C 05F27B3C
	v_max3_f32 v124, |v62|, |v63|, v124                        // 000000008634: D1D3037C 05F27F3E
	v_max3_f32 v124, |v76|, |v77|, v124                        // 00000000863C: D1D3037C 05F29B4C
	v_max3_f32 v124, |v78|, |v79|, v124                        // 000000008644: D1D3037C 05F29F4E
	ds_write_b32 v132, v124                                    // 00000000864C: D81A0000 00007C84
	s_waitcnt lgkmcnt(0)                                       // 000000008654: BF8CC07F
	s_barrier                                                  // 000000008658: BF8A0000
	ds_read_b32 v4, v133                                       // 00000000865C: D86C0000 04000085
	ds_read_b32 v5, v133 offset:64                             // 000000008664: D86C0040 05000085
	ds_read_b32 v6, v133 offset:128                            // 00000000866C: D86C0080 06000085
	ds_read_b32 v7, v133 offset:192                            // 000000008674: D86C00C0 07000085
	ds_read_b32 v8, v133 offset:256                            // 00000000867C: D86C0100 08000085
	ds_read_b32 v9, v133 offset:320                            // 000000008684: D86C0140 09000085
	ds_read_b32 v10, v133 offset:384                           // 00000000868C: D86C0180 0A000085
	ds_read_b32 v11, v133 offset:448                           // 000000008694: D86C01C0 0B000085
	ds_read_b32 v12, v133 offset:512                           // 00000000869C: D86C0200 0C000085
	ds_read_b32 v13, v133 offset:576                           // 0000000086A4: D86C0240 0D000085
	ds_read_b32 v14, v133 offset:640                           // 0000000086AC: D86C0280 0E000085
	ds_read_b32 v15, v133 offset:704                           // 0000000086B4: D86C02C0 0F000085
	ds_read_b32 v16, v133 offset:768                           // 0000000086BC: D86C0300 10000085
	ds_read_b32 v17, v133 offset:832                           // 0000000086C4: D86C0340 11000085
	ds_read_b32 v18, v133 offset:896                           // 0000000086CC: D86C0380 12000085
	ds_read_b32 v19, v133 offset:960                           // 0000000086D4: D86C03C0 13000085
	s_waitcnt lgkmcnt(0)                                       // 0000000086DC: BF8CC07F
	s_barrier                                                  // 0000000086E0: BF8A0000
	v_max3_f32 v124, |v4|, |v5|, v124                          // 0000000086E4: D1D3037C 05F20B04
	v_max3_f32 v124, |v6|, |v7|, v124                          // 0000000086EC: D1D3037C 05F20F06
	v_max3_f32 v124, |v8|, |v9|, v124                          // 0000000086F4: D1D3037C 05F21308
	v_max3_f32 v124, |v10|, |v11|, v124                        // 0000000086FC: D1D3037C 05F2170A
	v_max3_f32 v124, |v12|, |v13|, v124                        // 000000008704: D1D3037C 05F21B0C
	v_max3_f32 v124, |v14|, |v15|, v124                        // 00000000870C: D1D3037C 05F21F0E
	v_max3_f32 v124, |v16|, |v17|, v124                        // 000000008714: D1D3037C 05F22310
	v_max3_f32 v124, |v18|, |v19|, v124                        // 00000000871C: D1D3037C 05F22712
	v_rcp_f32_e32 v124, v124                                   // 000000008724: 7EF8457C
	v_mov_b32_e32 v4, 0x43700000                               // 000000008728: 7E0802FF 43700000
	v_mul_f32_e32 v124, v4, v124                               // 000000008730: 0AF8F904
	v_mov_b32_e32 v4, v124                                     // 000000008734: 7E08037C
	v_mov_b32_e32 v5, v4                                       // 000000008738: 7E0A0304
	v_pk_mul_f32 v[60:61], v[4:5], v[60:61]                    // 00000000873C: D3B1403C 18027904
	v_pk_mul_f32 v[62:63], v[4:5], v[62:63]                    // 000000008744: D3B1403E 18027D04
	v_cvt_pk_fp8_f32 v60, v60, v61                             // 00000000874C: D2A2003C 00027B3C
	v_cvt_pk_fp8_f32 v60, v62, v63 op_sel:[0,0,1]              // 000000008754: D2A2403C 00027F3E
	v_pk_mul_f32 v[76:77], v[4:5], v[76:77]                    // 00000000875C: D3B1404C 18029904
	v_pk_mul_f32 v[78:79], v[4:5], v[78:79]                    // 000000008764: D3B1404E 18029D04
	v_cvt_pk_fp8_f32 v76, v76, v77                             // 00000000876C: D2A2004C 00029B4C
	v_cvt_pk_fp8_f32 v76, v78, v79 op_sel:[0,0,1]              // 000000008774: D2A2404C 00029F4E
	v_rcp_f32_e32 v124, v124                                   // 00000000877C: 7EF8457C
	v_mov_b32_e32 v128, 0x358637bd                             // 000000008780: 7F0002FF 358637BD
	v_max3_f32 v128, |v92|, |v93|, v128                        // 000000008788: D1D30380 0602BB5C
	v_max3_f32 v128, |v94|, |v95|, v128                        // 000000008790: D1D30380 0602BF5E
	v_max3_f32 v128, |v108|, |v109|, v128                      // 000000008798: D1D30380 0602DB6C
	v_max3_f32 v128, |v110|, |v111|, v128                      // 0000000087A0: D1D30380 0602DF6E
	ds_write_b32 v132, v128                                    // 0000000087A8: D81A0000 00008084
	s_waitcnt lgkmcnt(0)                                       // 0000000087B0: BF8CC07F
	s_barrier                                                  // 0000000087B4: BF8A0000
	ds_read_b32 v4, v133                                       // 0000000087B8: D86C0000 04000085
	ds_read_b32 v5, v133 offset:64                             // 0000000087C0: D86C0040 05000085
	ds_read_b32 v6, v133 offset:128                            // 0000000087C8: D86C0080 06000085
	ds_read_b32 v7, v133 offset:192                            // 0000000087D0: D86C00C0 07000085
	ds_read_b32 v8, v133 offset:256                            // 0000000087D8: D86C0100 08000085
	ds_read_b32 v9, v133 offset:320                            // 0000000087E0: D86C0140 09000085
	ds_read_b32 v10, v133 offset:384                           // 0000000087E8: D86C0180 0A000085
	ds_read_b32 v11, v133 offset:448                           // 0000000087F0: D86C01C0 0B000085
	ds_read_b32 v12, v133 offset:512                           // 0000000087F8: D86C0200 0C000085
	ds_read_b32 v13, v133 offset:576                           // 000000008800: D86C0240 0D000085
	ds_read_b32 v14, v133 offset:640                           // 000000008808: D86C0280 0E000085
	ds_read_b32 v15, v133 offset:704                           // 000000008810: D86C02C0 0F000085
	ds_read_b32 v16, v133 offset:768                           // 000000008818: D86C0300 10000085
	ds_read_b32 v17, v133 offset:832                           // 000000008820: D86C0340 11000085
	ds_read_b32 v18, v133 offset:896                           // 000000008828: D86C0380 12000085
	ds_read_b32 v19, v133 offset:960                           // 000000008830: D86C03C0 13000085
	s_waitcnt lgkmcnt(0)                                       // 000000008838: BF8CC07F
	s_barrier                                                  // 00000000883C: BF8A0000
	v_max3_f32 v128, |v4|, |v5|, v128                          // 000000008840: D1D30380 06020B04
	v_max3_f32 v128, |v6|, |v7|, v128                          // 000000008848: D1D30380 06020F06
	v_max3_f32 v128, |v8|, |v9|, v128                          // 000000008850: D1D30380 06021308
	v_max3_f32 v128, |v10|, |v11|, v128                        // 000000008858: D1D30380 0602170A
	v_max3_f32 v128, |v12|, |v13|, v128                        // 000000008860: D1D30380 06021B0C
	v_max3_f32 v128, |v14|, |v15|, v128                        // 000000008868: D1D30380 06021F0E
	v_max3_f32 v128, |v16|, |v17|, v128                        // 000000008870: D1D30380 06022310
	v_max3_f32 v128, |v18|, |v19|, v128                        // 000000008878: D1D30380 06022712
	v_rcp_f32_e32 v128, v128                                   // 000000008880: 7F004580
	v_mov_b32_e32 v4, 0x43700000                               // 000000008884: 7E0802FF 43700000
	v_mul_f32_e32 v128, v4, v128                               // 00000000888C: 0B010104
	v_mov_b32_e32 v4, v128                                     // 000000008890: 7E080380
	v_mov_b32_e32 v5, v4                                       // 000000008894: 7E0A0304
	v_pk_mul_f32 v[92:93], v[4:5], v[92:93]                    // 000000008898: D3B1405C 1802B904
	v_pk_mul_f32 v[94:95], v[4:5], v[94:95]                    // 0000000088A0: D3B1405E 1802BD04
	v_cvt_pk_fp8_f32 v92, v92, v93                             // 0000000088A8: D2A2005C 0002BB5C
	v_cvt_pk_fp8_f32 v92, v94, v95 op_sel:[0,0,1]              // 0000000088B0: D2A2405C 0002BF5E
	v_pk_mul_f32 v[108:109], v[4:5], v[108:109]                // 0000000088B8: D3B1406C 1802D904
	v_pk_mul_f32 v[110:111], v[4:5], v[110:111]                // 0000000088C0: D3B1406E 1802DD04
	v_cvt_pk_fp8_f32 v108, v108, v109                          // 0000000088C8: D2A2006C 0002DB6C
	v_cvt_pk_fp8_f32 v108, v110, v111 op_sel:[0,0,1]           // 0000000088D0: D2A2406C 0002DF6E
	v_rcp_f32_e32 v128, v128                                   // 0000000088D8: 7F004580
	v_mov_b32_e32 v125, 0x358637bd                             // 0000000088DC: 7EFA02FF 358637BD
	v_max3_f32 v125, |v64|, |v65|, v125                        // 0000000088E4: D1D3037D 05F68340
	v_max3_f32 v125, |v66|, |v67|, v125                        // 0000000088EC: D1D3037D 05F68742
	v_max3_f32 v125, |v80|, |v81|, v125                        // 0000000088F4: D1D3037D 05F6A350
	v_max3_f32 v125, |v82|, |v83|, v125                        // 0000000088FC: D1D3037D 05F6A752
	ds_write_b32 v132, v125                                    // 000000008904: D81A0000 00007D84
	s_waitcnt lgkmcnt(0)                                       // 00000000890C: BF8CC07F
	s_barrier                                                  // 000000008910: BF8A0000
	ds_read_b32 v4, v133                                       // 000000008914: D86C0000 04000085
	ds_read_b32 v5, v133 offset:64                             // 00000000891C: D86C0040 05000085
	ds_read_b32 v6, v133 offset:128                            // 000000008924: D86C0080 06000085
	ds_read_b32 v7, v133 offset:192                            // 00000000892C: D86C00C0 07000085
	ds_read_b32 v8, v133 offset:256                            // 000000008934: D86C0100 08000085
	ds_read_b32 v9, v133 offset:320                            // 00000000893C: D86C0140 09000085
	ds_read_b32 v10, v133 offset:384                           // 000000008944: D86C0180 0A000085
	ds_read_b32 v11, v133 offset:448                           // 00000000894C: D86C01C0 0B000085
	ds_read_b32 v12, v133 offset:512                           // 000000008954: D86C0200 0C000085
	ds_read_b32 v13, v133 offset:576                           // 00000000895C: D86C0240 0D000085
	ds_read_b32 v14, v133 offset:640                           // 000000008964: D86C0280 0E000085
	ds_read_b32 v15, v133 offset:704                           // 00000000896C: D86C02C0 0F000085
	ds_read_b32 v16, v133 offset:768                           // 000000008974: D86C0300 10000085
	ds_read_b32 v17, v133 offset:832                           // 00000000897C: D86C0340 11000085
	ds_read_b32 v18, v133 offset:896                           // 000000008984: D86C0380 12000085
	ds_read_b32 v19, v133 offset:960                           // 00000000898C: D86C03C0 13000085
	s_waitcnt lgkmcnt(0)                                       // 000000008994: BF8CC07F
	s_barrier                                                  // 000000008998: BF8A0000
	v_max3_f32 v125, |v4|, |v5|, v125                          // 00000000899C: D1D3037D 05F60B04
	v_max3_f32 v125, |v6|, |v7|, v125                          // 0000000089A4: D1D3037D 05F60F06
	v_max3_f32 v125, |v8|, |v9|, v125                          // 0000000089AC: D1D3037D 05F61308
	v_max3_f32 v125, |v10|, |v11|, v125                        // 0000000089B4: D1D3037D 05F6170A
	v_max3_f32 v125, |v12|, |v13|, v125                        // 0000000089BC: D1D3037D 05F61B0C
	v_max3_f32 v125, |v14|, |v15|, v125                        // 0000000089C4: D1D3037D 05F61F0E
	v_max3_f32 v125, |v16|, |v17|, v125                        // 0000000089CC: D1D3037D 05F62310
	v_max3_f32 v125, |v18|, |v19|, v125                        // 0000000089D4: D1D3037D 05F62712
	v_rcp_f32_e32 v125, v125                                   // 0000000089DC: 7EFA457D
	v_mov_b32_e32 v4, 0x43700000                               // 0000000089E0: 7E0802FF 43700000
	v_mul_f32_e32 v125, v4, v125                               // 0000000089E8: 0AFAFB04
	v_mov_b32_e32 v4, v125                                     // 0000000089EC: 7E08037D
	v_mov_b32_e32 v5, v4                                       // 0000000089F0: 7E0A0304
	v_pk_mul_f32 v[64:65], v[4:5], v[64:65]                    // 0000000089F4: D3B14040 18028104
	v_pk_mul_f32 v[66:67], v[4:5], v[66:67]                    // 0000000089FC: D3B14042 18028504
	v_cvt_pk_fp8_f32 v64, v64, v65                             // 000000008A04: D2A20040 00028340
	v_cvt_pk_fp8_f32 v64, v66, v67 op_sel:[0,0,1]              // 000000008A0C: D2A24040 00028742
	v_pk_mul_f32 v[80:81], v[4:5], v[80:81]                    // 000000008A14: D3B14050 1802A104
	v_pk_mul_f32 v[82:83], v[4:5], v[82:83]                    // 000000008A1C: D3B14052 1802A504
	v_cvt_pk_fp8_f32 v80, v80, v81                             // 000000008A24: D2A20050 0002A350
	v_cvt_pk_fp8_f32 v80, v82, v83 op_sel:[0,0,1]              // 000000008A2C: D2A24050 0002A752
	v_rcp_f32_e32 v125, v125                                   // 000000008A34: 7EFA457D
	v_mov_b32_e32 v129, 0x358637bd                             // 000000008A38: 7F0202FF 358637BD
	v_max3_f32 v129, |v96|, |v97|, v129                        // 000000008A40: D1D30381 0606C360
	v_max3_f32 v129, |v98|, |v99|, v129                        // 000000008A48: D1D30381 0606C762
	v_max3_f32 v129, |v112|, |v113|, v129                      // 000000008A50: D1D30381 0606E370
	v_max3_f32 v129, |v114|, |v115|, v129                      // 000000008A58: D1D30381 0606E772
	ds_write_b32 v132, v129                                    // 000000008A60: D81A0000 00008184
	s_waitcnt lgkmcnt(0)                                       // 000000008A68: BF8CC07F
	s_barrier                                                  // 000000008A6C: BF8A0000
	ds_read_b32 v4, v133                                       // 000000008A70: D86C0000 04000085
	ds_read_b32 v5, v133 offset:64                             // 000000008A78: D86C0040 05000085
	ds_read_b32 v6, v133 offset:128                            // 000000008A80: D86C0080 06000085
	ds_read_b32 v7, v133 offset:192                            // 000000008A88: D86C00C0 07000085
	ds_read_b32 v8, v133 offset:256                            // 000000008A90: D86C0100 08000085
	ds_read_b32 v9, v133 offset:320                            // 000000008A98: D86C0140 09000085
	ds_read_b32 v10, v133 offset:384                           // 000000008AA0: D86C0180 0A000085
	ds_read_b32 v11, v133 offset:448                           // 000000008AA8: D86C01C0 0B000085
	ds_read_b32 v12, v133 offset:512                           // 000000008AB0: D86C0200 0C000085
	ds_read_b32 v13, v133 offset:576                           // 000000008AB8: D86C0240 0D000085
	ds_read_b32 v14, v133 offset:640                           // 000000008AC0: D86C0280 0E000085
	ds_read_b32 v15, v133 offset:704                           // 000000008AC8: D86C02C0 0F000085
	ds_read_b32 v16, v133 offset:768                           // 000000008AD0: D86C0300 10000085
	ds_read_b32 v17, v133 offset:832                           // 000000008AD8: D86C0340 11000085
	ds_read_b32 v18, v133 offset:896                           // 000000008AE0: D86C0380 12000085
	ds_read_b32 v19, v133 offset:960                           // 000000008AE8: D86C03C0 13000085
	s_waitcnt lgkmcnt(0)                                       // 000000008AF0: BF8CC07F
	s_barrier                                                  // 000000008AF4: BF8A0000
	v_max3_f32 v129, |v4|, |v5|, v129                          // 000000008AF8: D1D30381 06060B04
	v_max3_f32 v129, |v6|, |v7|, v129                          // 000000008B00: D1D30381 06060F06
	v_max3_f32 v129, |v8|, |v9|, v129                          // 000000008B08: D1D30381 06061308
	v_max3_f32 v129, |v10|, |v11|, v129                        // 000000008B10: D1D30381 0606170A
	v_max3_f32 v129, |v12|, |v13|, v129                        // 000000008B18: D1D30381 06061B0C
	v_max3_f32 v129, |v14|, |v15|, v129                        // 000000008B20: D1D30381 06061F0E
	v_max3_f32 v129, |v16|, |v17|, v129                        // 000000008B28: D1D30381 06062310
	v_max3_f32 v129, |v18|, |v19|, v129                        // 000000008B30: D1D30381 06062712
	v_rcp_f32_e32 v129, v129                                   // 000000008B38: 7F024581
	v_mov_b32_e32 v4, 0x43700000                               // 000000008B3C: 7E0802FF 43700000
	v_mul_f32_e32 v129, v4, v129                               // 000000008B44: 0B030304
	v_mov_b32_e32 v4, v129                                     // 000000008B48: 7E080381
	v_mov_b32_e32 v5, v4                                       // 000000008B4C: 7E0A0304
	v_pk_mul_f32 v[96:97], v[4:5], v[96:97]                    // 000000008B50: D3B14060 1802C104
	v_pk_mul_f32 v[98:99], v[4:5], v[98:99]                    // 000000008B58: D3B14062 1802C504
	v_cvt_pk_fp8_f32 v96, v96, v97                             // 000000008B60: D2A20060 0002C360
	v_cvt_pk_fp8_f32 v96, v98, v99 op_sel:[0,0,1]              // 000000008B68: D2A24060 0002C762
	v_pk_mul_f32 v[112:113], v[4:5], v[112:113]                // 000000008B70: D3B14070 1802E104
	v_pk_mul_f32 v[114:115], v[4:5], v[114:115]                // 000000008B78: D3B14072 1802E504
	v_cvt_pk_fp8_f32 v112, v112, v113                          // 000000008B80: D2A20070 0002E370
	v_cvt_pk_fp8_f32 v112, v114, v115 op_sel:[0,0,1]           // 000000008B88: D2A24070 0002E772
	v_rcp_f32_e32 v129, v129                                   // 000000008B90: 7F024581
	v_mov_b32_e32 v126, 0x358637bd                             // 000000008B94: 7EFC02FF 358637BD
	v_max3_f32 v126, |v68|, |v69|, v126                        // 000000008B9C: D1D3037E 05FA8B44
	v_max3_f32 v126, |v70|, |v71|, v126                        // 000000008BA4: D1D3037E 05FA8F46
	v_max3_f32 v126, |v84|, |v85|, v126                        // 000000008BAC: D1D3037E 05FAAB54
	v_max3_f32 v126, |v86|, |v87|, v126                        // 000000008BB4: D1D3037E 05FAAF56
	ds_write_b32 v132, v126                                    // 000000008BBC: D81A0000 00007E84
	s_waitcnt lgkmcnt(0)                                       // 000000008BC4: BF8CC07F
	s_barrier                                                  // 000000008BC8: BF8A0000
	ds_read_b32 v4, v133                                       // 000000008BCC: D86C0000 04000085
	ds_read_b32 v5, v133 offset:64                             // 000000008BD4: D86C0040 05000085
	ds_read_b32 v6, v133 offset:128                            // 000000008BDC: D86C0080 06000085
	ds_read_b32 v7, v133 offset:192                            // 000000008BE4: D86C00C0 07000085
	ds_read_b32 v8, v133 offset:256                            // 000000008BEC: D86C0100 08000085
	ds_read_b32 v9, v133 offset:320                            // 000000008BF4: D86C0140 09000085
	ds_read_b32 v10, v133 offset:384                           // 000000008BFC: D86C0180 0A000085
	ds_read_b32 v11, v133 offset:448                           // 000000008C04: D86C01C0 0B000085
	ds_read_b32 v12, v133 offset:512                           // 000000008C0C: D86C0200 0C000085
	ds_read_b32 v13, v133 offset:576                           // 000000008C14: D86C0240 0D000085
	ds_read_b32 v14, v133 offset:640                           // 000000008C1C: D86C0280 0E000085
	ds_read_b32 v15, v133 offset:704                           // 000000008C24: D86C02C0 0F000085
	ds_read_b32 v16, v133 offset:768                           // 000000008C2C: D86C0300 10000085
	ds_read_b32 v17, v133 offset:832                           // 000000008C34: D86C0340 11000085
	ds_read_b32 v18, v133 offset:896                           // 000000008C3C: D86C0380 12000085
	ds_read_b32 v19, v133 offset:960                           // 000000008C44: D86C03C0 13000085
	s_waitcnt lgkmcnt(0)                                       // 000000008C4C: BF8CC07F
	s_barrier                                                  // 000000008C50: BF8A0000
	v_max3_f32 v126, |v4|, |v5|, v126                          // 000000008C54: D1D3037E 05FA0B04
	v_max3_f32 v126, |v6|, |v7|, v126                          // 000000008C5C: D1D3037E 05FA0F06
	v_max3_f32 v126, |v8|, |v9|, v126                          // 000000008C64: D1D3037E 05FA1308
	v_max3_f32 v126, |v10|, |v11|, v126                        // 000000008C6C: D1D3037E 05FA170A
	v_max3_f32 v126, |v12|, |v13|, v126                        // 000000008C74: D1D3037E 05FA1B0C
	v_max3_f32 v126, |v14|, |v15|, v126                        // 000000008C7C: D1D3037E 05FA1F0E
	v_max3_f32 v126, |v16|, |v17|, v126                        // 000000008C84: D1D3037E 05FA2310
	v_max3_f32 v126, |v18|, |v19|, v126                        // 000000008C8C: D1D3037E 05FA2712
	v_rcp_f32_e32 v126, v126                                   // 000000008C94: 7EFC457E
	v_mov_b32_e32 v4, 0x43700000                               // 000000008C98: 7E0802FF 43700000
	v_mul_f32_e32 v126, v4, v126                               // 000000008CA0: 0AFCFD04
	v_mov_b32_e32 v4, v126                                     // 000000008CA4: 7E08037E
	v_mov_b32_e32 v5, v4                                       // 000000008CA8: 7E0A0304
	v_pk_mul_f32 v[68:69], v[4:5], v[68:69]                    // 000000008CAC: D3B14044 18028904
	v_pk_mul_f32 v[70:71], v[4:5], v[70:71]                    // 000000008CB4: D3B14046 18028D04
	v_cvt_pk_fp8_f32 v68, v68, v69                             // 000000008CBC: D2A20044 00028B44
	v_cvt_pk_fp8_f32 v68, v70, v71 op_sel:[0,0,1]              // 000000008CC4: D2A24044 00028F46
	v_pk_mul_f32 v[84:85], v[4:5], v[84:85]                    // 000000008CCC: D3B14054 1802A904
	v_pk_mul_f32 v[86:87], v[4:5], v[86:87]                    // 000000008CD4: D3B14056 1802AD04
	v_cvt_pk_fp8_f32 v84, v84, v85                             // 000000008CDC: D2A20054 0002AB54
	v_cvt_pk_fp8_f32 v84, v86, v87 op_sel:[0,0,1]              // 000000008CE4: D2A24054 0002AF56
	v_rcp_f32_e32 v126, v126                                   // 000000008CEC: 7EFC457E
	v_mov_b32_e32 v130, 0x358637bd                             // 000000008CF0: 7F0402FF 358637BD
	v_max3_f32 v130, |v100|, |v101|, v130                      // 000000008CF8: D1D30382 060ACB64
	v_max3_f32 v130, |v102|, |v103|, v130                      // 000000008D00: D1D30382 060ACF66
	v_max3_f32 v130, |v116|, |v117|, v130                      // 000000008D08: D1D30382 060AEB74
	v_max3_f32 v130, |v118|, |v119|, v130                      // 000000008D10: D1D30382 060AEF76
	ds_write_b32 v132, v130                                    // 000000008D18: D81A0000 00008284
	s_waitcnt lgkmcnt(0)                                       // 000000008D20: BF8CC07F
	s_barrier                                                  // 000000008D24: BF8A0000
	ds_read_b32 v4, v133                                       // 000000008D28: D86C0000 04000085
	ds_read_b32 v5, v133 offset:64                             // 000000008D30: D86C0040 05000085
	ds_read_b32 v6, v133 offset:128                            // 000000008D38: D86C0080 06000085
	ds_read_b32 v7, v133 offset:192                            // 000000008D40: D86C00C0 07000085
	ds_read_b32 v8, v133 offset:256                            // 000000008D48: D86C0100 08000085
	ds_read_b32 v9, v133 offset:320                            // 000000008D50: D86C0140 09000085
	ds_read_b32 v10, v133 offset:384                           // 000000008D58: D86C0180 0A000085
	ds_read_b32 v11, v133 offset:448                           // 000000008D60: D86C01C0 0B000085
	ds_read_b32 v12, v133 offset:512                           // 000000008D68: D86C0200 0C000085
	ds_read_b32 v13, v133 offset:576                           // 000000008D70: D86C0240 0D000085
	ds_read_b32 v14, v133 offset:640                           // 000000008D78: D86C0280 0E000085
	ds_read_b32 v15, v133 offset:704                           // 000000008D80: D86C02C0 0F000085
	ds_read_b32 v16, v133 offset:768                           // 000000008D88: D86C0300 10000085
	ds_read_b32 v17, v133 offset:832                           // 000000008D90: D86C0340 11000085
	ds_read_b32 v18, v133 offset:896                           // 000000008D98: D86C0380 12000085
	ds_read_b32 v19, v133 offset:960                           // 000000008DA0: D86C03C0 13000085
	s_waitcnt lgkmcnt(0)                                       // 000000008DA8: BF8CC07F
	s_barrier                                                  // 000000008DAC: BF8A0000
	v_max3_f32 v130, |v4|, |v5|, v130                          // 000000008DB0: D1D30382 060A0B04
	v_max3_f32 v130, |v6|, |v7|, v130                          // 000000008DB8: D1D30382 060A0F06
	v_max3_f32 v130, |v8|, |v9|, v130                          // 000000008DC0: D1D30382 060A1308
	v_max3_f32 v130, |v10|, |v11|, v130                        // 000000008DC8: D1D30382 060A170A
	v_max3_f32 v130, |v12|, |v13|, v130                        // 000000008DD0: D1D30382 060A1B0C
	v_max3_f32 v130, |v14|, |v15|, v130                        // 000000008DD8: D1D30382 060A1F0E
	v_max3_f32 v130, |v16|, |v17|, v130                        // 000000008DE0: D1D30382 060A2310
	v_max3_f32 v130, |v18|, |v19|, v130                        // 000000008DE8: D1D30382 060A2712
	v_rcp_f32_e32 v130, v130                                   // 000000008DF0: 7F044582
	v_mov_b32_e32 v4, 0x43700000                               // 000000008DF4: 7E0802FF 43700000
	v_mul_f32_e32 v130, v4, v130                               // 000000008DFC: 0B050504
	v_mov_b32_e32 v4, v130                                     // 000000008E00: 7E080382
	v_mov_b32_e32 v5, v4                                       // 000000008E04: 7E0A0304
	v_pk_mul_f32 v[100:101], v[4:5], v[100:101]                // 000000008E08: D3B14064 1802C904
	v_pk_mul_f32 v[102:103], v[4:5], v[102:103]                // 000000008E10: D3B14066 1802CD04
	v_cvt_pk_fp8_f32 v100, v100, v101                          // 000000008E18: D2A20064 0002CB64
	v_cvt_pk_fp8_f32 v100, v102, v103 op_sel:[0,0,1]           // 000000008E20: D2A24064 0002CF66
	v_pk_mul_f32 v[116:117], v[4:5], v[116:117]                // 000000008E28: D3B14074 1802E904
	v_pk_mul_f32 v[118:119], v[4:5], v[118:119]                // 000000008E30: D3B14076 1802ED04
	v_cvt_pk_fp8_f32 v116, v116, v117                          // 000000008E38: D2A20074 0002EB74
	v_cvt_pk_fp8_f32 v116, v118, v119 op_sel:[0,0,1]           // 000000008E40: D2A24074 0002EF76
	v_rcp_f32_e32 v130, v130                                   // 000000008E48: 7F044582
	v_mov_b32_e32 v127, 0x358637bd                             // 000000008E4C: 7EFE02FF 358637BD
	v_max3_f32 v127, |v72|, |v73|, v127                        // 000000008E54: D1D3037F 05FE9348
	v_max3_f32 v127, |v74|, |v75|, v127                        // 000000008E5C: D1D3037F 05FE974A
	v_max3_f32 v127, |v88|, |v89|, v127                        // 000000008E64: D1D3037F 05FEB358
	v_max3_f32 v127, |v90|, |v91|, v127                        // 000000008E6C: D1D3037F 05FEB75A
	ds_write_b32 v132, v127                                    // 000000008E74: D81A0000 00007F84
	s_waitcnt lgkmcnt(0)                                       // 000000008E7C: BF8CC07F
	s_barrier                                                  // 000000008E80: BF8A0000
	ds_read_b32 v4, v133                                       // 000000008E84: D86C0000 04000085
	ds_read_b32 v5, v133 offset:64                             // 000000008E8C: D86C0040 05000085
	ds_read_b32 v6, v133 offset:128                            // 000000008E94: D86C0080 06000085
	ds_read_b32 v7, v133 offset:192                            // 000000008E9C: D86C00C0 07000085
	ds_read_b32 v8, v133 offset:256                            // 000000008EA4: D86C0100 08000085
	ds_read_b32 v9, v133 offset:320                            // 000000008EAC: D86C0140 09000085
	ds_read_b32 v10, v133 offset:384                           // 000000008EB4: D86C0180 0A000085
	ds_read_b32 v11, v133 offset:448                           // 000000008EBC: D86C01C0 0B000085
	ds_read_b32 v12, v133 offset:512                           // 000000008EC4: D86C0200 0C000085
	ds_read_b32 v13, v133 offset:576                           // 000000008ECC: D86C0240 0D000085
	ds_read_b32 v14, v133 offset:640                           // 000000008ED4: D86C0280 0E000085
	ds_read_b32 v15, v133 offset:704                           // 000000008EDC: D86C02C0 0F000085
	ds_read_b32 v16, v133 offset:768                           // 000000008EE4: D86C0300 10000085
	ds_read_b32 v17, v133 offset:832                           // 000000008EEC: D86C0340 11000085
	ds_read_b32 v18, v133 offset:896                           // 000000008EF4: D86C0380 12000085
	ds_read_b32 v19, v133 offset:960                           // 000000008EFC: D86C03C0 13000085
	s_waitcnt lgkmcnt(0)                                       // 000000008F04: BF8CC07F
	s_barrier                                                  // 000000008F08: BF8A0000
	v_max3_f32 v127, |v4|, |v5|, v127                          // 000000008F0C: D1D3037F 05FE0B04
	v_max3_f32 v127, |v6|, |v7|, v127                          // 000000008F14: D1D3037F 05FE0F06
	v_max3_f32 v127, |v8|, |v9|, v127                          // 000000008F1C: D1D3037F 05FE1308
	v_max3_f32 v127, |v10|, |v11|, v127                        // 000000008F24: D1D3037F 05FE170A
	v_max3_f32 v127, |v12|, |v13|, v127                        // 000000008F2C: D1D3037F 05FE1B0C
	v_max3_f32 v127, |v14|, |v15|, v127                        // 000000008F34: D1D3037F 05FE1F0E
	v_max3_f32 v127, |v16|, |v17|, v127                        // 000000008F3C: D1D3037F 05FE2310
	v_max3_f32 v127, |v18|, |v19|, v127                        // 000000008F44: D1D3037F 05FE2712
	v_rcp_f32_e32 v127, v127                                   // 000000008F4C: 7EFE457F
	v_mov_b32_e32 v4, 0x43700000                               // 000000008F50: 7E0802FF 43700000
	v_mul_f32_e32 v127, v4, v127                               // 000000008F58: 0AFEFF04
	v_mov_b32_e32 v4, v127                                     // 000000008F5C: 7E08037F
	v_mov_b32_e32 v5, v4                                       // 000000008F60: 7E0A0304
	v_pk_mul_f32 v[72:73], v[4:5], v[72:73]                    // 000000008F64: D3B14048 18029104
	v_pk_mul_f32 v[74:75], v[4:5], v[74:75]                    // 000000008F6C: D3B1404A 18029504
	v_cvt_pk_fp8_f32 v72, v72, v73                             // 000000008F74: D2A20048 00029348
	v_cvt_pk_fp8_f32 v72, v74, v75 op_sel:[0,0,1]              // 000000008F7C: D2A24048 0002974A
	v_pk_mul_f32 v[88:89], v[4:5], v[88:89]                    // 000000008F84: D3B14058 1802B104
	v_pk_mul_f32 v[90:91], v[4:5], v[90:91]                    // 000000008F8C: D3B1405A 1802B504
	v_cvt_pk_fp8_f32 v88, v88, v89                             // 000000008F94: D2A20058 0002B358
	v_cvt_pk_fp8_f32 v88, v90, v91 op_sel:[0,0,1]              // 000000008F9C: D2A24058 0002B75A
	v_rcp_f32_e32 v127, v127                                   // 000000008FA4: 7EFE457F
	v_mov_b32_e32 v131, 0x358637bd                             // 000000008FA8: 7F0602FF 358637BD
	v_max3_f32 v131, |v104|, |v105|, v131                      // 000000008FB0: D1D30383 060ED368
	v_max3_f32 v131, |v106|, |v107|, v131                      // 000000008FB8: D1D30383 060ED76A
	v_max3_f32 v131, |v120|, |v121|, v131                      // 000000008FC0: D1D30383 060EF378
	v_max3_f32 v131, |v122|, |v123|, v131                      // 000000008FC8: D1D30383 060EF77A
	ds_write_b32 v132, v131                                    // 000000008FD0: D81A0000 00008384
	s_waitcnt lgkmcnt(0)                                       // 000000008FD8: BF8CC07F
	s_barrier                                                  // 000000008FDC: BF8A0000
	ds_read_b32 v4, v133                                       // 000000008FE0: D86C0000 04000085
	ds_read_b32 v5, v133 offset:64                             // 000000008FE8: D86C0040 05000085
	ds_read_b32 v6, v133 offset:128                            // 000000008FF0: D86C0080 06000085
	ds_read_b32 v7, v133 offset:192                            // 000000008FF8: D86C00C0 07000085
	ds_read_b32 v8, v133 offset:256                            // 000000009000: D86C0100 08000085
	ds_read_b32 v9, v133 offset:320                            // 000000009008: D86C0140 09000085
	ds_read_b32 v10, v133 offset:384                           // 000000009010: D86C0180 0A000085
	ds_read_b32 v11, v133 offset:448                           // 000000009018: D86C01C0 0B000085
	ds_read_b32 v12, v133 offset:512                           // 000000009020: D86C0200 0C000085
	ds_read_b32 v13, v133 offset:576                           // 000000009028: D86C0240 0D000085
	ds_read_b32 v14, v133 offset:640                           // 000000009030: D86C0280 0E000085
	ds_read_b32 v15, v133 offset:704                           // 000000009038: D86C02C0 0F000085
	ds_read_b32 v16, v133 offset:768                           // 000000009040: D86C0300 10000085
	ds_read_b32 v17, v133 offset:832                           // 000000009048: D86C0340 11000085
	ds_read_b32 v18, v133 offset:896                           // 000000009050: D86C0380 12000085
	ds_read_b32 v19, v133 offset:960                           // 000000009058: D86C03C0 13000085
	s_waitcnt lgkmcnt(0)                                       // 000000009060: BF8CC07F
	s_barrier                                                  // 000000009064: BF8A0000
	v_max3_f32 v131, |v4|, |v5|, v131                          // 000000009068: D1D30383 060E0B04
	v_max3_f32 v131, |v6|, |v7|, v131                          // 000000009070: D1D30383 060E0F06
	v_max3_f32 v131, |v8|, |v9|, v131                          // 000000009078: D1D30383 060E1308
	v_max3_f32 v131, |v10|, |v11|, v131                        // 000000009080: D1D30383 060E170A
	v_max3_f32 v131, |v12|, |v13|, v131                        // 000000009088: D1D30383 060E1B0C
	v_max3_f32 v131, |v14|, |v15|, v131                        // 000000009090: D1D30383 060E1F0E
	v_max3_f32 v131, |v16|, |v17|, v131                        // 000000009098: D1D30383 060E2310
	v_max3_f32 v131, |v18|, |v19|, v131                        // 0000000090A0: D1D30383 060E2712
	v_rcp_f32_e32 v131, v131                                   // 0000000090A8: 7F064583
	v_mov_b32_e32 v4, 0x43700000                               // 0000000090AC: 7E0802FF 43700000
	v_mul_f32_e32 v131, v4, v131                               // 0000000090B4: 0B070704
	v_mov_b32_e32 v4, v131                                     // 0000000090B8: 7E080383
	v_mov_b32_e32 v5, v4                                       // 0000000090BC: 7E0A0304
	v_pk_mul_f32 v[104:105], v[4:5], v[104:105]                // 0000000090C0: D3B14068 1802D104
	v_pk_mul_f32 v[106:107], v[4:5], v[106:107]                // 0000000090C8: D3B1406A 1802D504
	v_cvt_pk_fp8_f32 v104, v104, v105                          // 0000000090D0: D2A20068 0002D368
	v_cvt_pk_fp8_f32 v104, v106, v107 op_sel:[0,0,1]           // 0000000090D8: D2A24068 0002D76A
	v_pk_mul_f32 v[120:121], v[4:5], v[120:121]                // 0000000090E0: D3B14078 1802F104
	v_pk_mul_f32 v[122:123], v[4:5], v[122:123]                // 0000000090E8: D3B1407A 1802F504
	v_cvt_pk_fp8_f32 v120, v120, v121                          // 0000000090F0: D2A20078 0002F378
	v_cvt_pk_fp8_f32 v120, v122, v123 op_sel:[0,0,1]           // 0000000090F8: D2A24078 0002F77A
	v_rcp_f32_e32 v131, v131                                   // 000000009100: 7F064583
	v_lshrrev_b32_e32 v4, 5, v0                                // 000000009104: 20080085
	v_mul_lo_u32 v20, 34, v4                                   // 000000009108: D2850014 000208A2
	v_and_b32_e32 v4, 31, v0                                   // 000000009110: 2608009F
	v_lshrrev_b32_e32 v5, 4, v4                                // 000000009114: 200A0884
	v_add_u32_e32 v20, v5, v20                                 // 000000009118: 68282905
	v_and_b32_e32 v4, 15, v0                                   // 00000000911C: 2608008F
	v_mul_lo_u32 v5, 2, v4                                     // 000000009120: D2850005 00020882
	v_add_u32_e32 v20, v5, v20                                 // 000000009128: 68282905
	s_mul_i32 s60, s7, 0x44                                    // 00000000912C: 923CFF07 00000044
	v_add_u32_e32 v20, s60, v20                                // 000000009134: 6828283C
	v_lshlrev_b32_e32 v20, 2, v20                              // 000000009138: 24282882
	ds_write_b32 v20, v60                                      // 00000000913C: D81A0000 00003C14
	ds_write_b32 v20, v64 offset:4352                          // 000000009144: D81A1100 00004014
	ds_write_b32 v20, v68 offset:8704                          // 00000000914C: D81A2200 00004414
	ds_write_b32 v20, v72 offset:13056                         // 000000009154: D81A3300 00004814
	ds_write_b32 v20, v76 offset:1088                          // 00000000915C: D81A0440 00004C14
	ds_write_b32 v20, v80 offset:5440                          // 000000009164: D81A1540 00005014
	ds_write_b32 v20, v84 offset:9792                          // 00000000916C: D81A2640 00005414
	ds_write_b32 v20, v88 offset:14144                         // 000000009174: D81A3740 00005814
	ds_write_b32 v20, v92 offset:2176                          // 00000000917C: D81A0880 00005C14
	ds_write_b32 v20, v96 offset:6528                          // 000000009184: D81A1980 00006014
	ds_write_b32 v20, v100 offset:10880                        // 00000000918C: D81A2A80 00006414
	ds_write_b32 v20, v104 offset:15232                        // 000000009194: D81A3B80 00006814
	ds_write_b32 v20, v108 offset:3264                         // 00000000919C: D81A0CC0 00006C14
	ds_write_b32 v20, v112 offset:7616                         // 0000000091A4: D81A1DC0 00007014
	ds_write_b32 v20, v116 offset:11968                        // 0000000091AC: D81A2EC0 00007414
	ds_write_b32 v20, v120 offset:16320                        // 0000000091B4: D81A3FC0 00007814
	v_lshrrev_b32_e32 v4, 5, v0                                // 0000000091BC: 20080085
	v_xor_b32_e32 v5, 1, v4                                    // 0000000091C0: 2A0A0881
	s_mul_i32 s60, s65, 1                                      // 0000000091C4: 923C8141
	s_cmp_eq_u32 s88, 0                                        // 0000000091C8: BF068058
	s_cselect_b32 s61, 1, 8                                    // 0000000091CC: 853D8881
	s_mul_i32 s60, s61, s60                                    // 0000000091D0: 923C3C3D
	v_readlane_b32 s82, v3, 0                                  // 0000000091D4: D2890052 00010103
	s_lshr_b32 s61, s82, 24                                    // 0000000091DC: 8F3D9852
	s_and_b32 s82, s82, 0xffffff                               // 0000000091E0: 8652FF52 00FFFFFF
	s_mul_i32 s82, s82, s71                                    // 0000000091E8: 92524752
	s_mul_i32 s61, s60, s61                                    // 0000000091EC: 923D3D3C
	s_add_u32 s82, s82, s61                                    // 0000000091F0: 80523D52
	v_mul_lo_u32 v6, v5, s82                                   // 0000000091F4: D2850006 0000A505
	v_readlane_b32 s82, v3, 1                                  // 0000000091FC: D2890052 00010303
	s_lshr_b32 s61, s82, 24                                    // 000000009204: 8F3D9852
	s_and_b32 s82, s82, 0xffffff                               // 000000009208: 8652FF52 00FFFFFF
	s_mul_i32 s82, s82, s71                                    // 000000009210: 92524752
	s_mul_i32 s61, s60, s61                                    // 000000009214: 923D3D3C
	s_add_u32 s82, s82, s61                                    // 000000009218: 80523D52
	v_mul_lo_u32 v7, v4, s82                                   // 00000000921C: D2850007 0000A504
	v_add_u32_e32 v46, v6, v7                                  // 000000009224: 685C0F06
	v_readlane_b32 s82, v3, 2                                  // 000000009228: D2890052 00010503
	s_lshr_b32 s61, s82, 24                                    // 000000009230: 8F3D9852
	s_and_b32 s82, s82, 0xffffff                               // 000000009234: 8652FF52 00FFFFFF
	s_mul_i32 s82, s82, s71                                    // 00000000923C: 92524752
	s_mul_i32 s61, s60, s61                                    // 000000009240: 923D3D3C
	s_add_u32 s82, s82, s61                                    // 000000009244: 80523D52
	v_mul_lo_u32 v6, v5, s82                                   // 000000009248: D2850006 0000A505
	v_readlane_b32 s82, v3, 3                                  // 000000009250: D2890052 00010703
	s_lshr_b32 s61, s82, 24                                    // 000000009258: 8F3D9852
	s_and_b32 s82, s82, 0xffffff                               // 00000000925C: 8652FF52 00FFFFFF
	s_mul_i32 s82, s82, s71                                    // 000000009264: 92524752
	s_mul_i32 s61, s60, s61                                    // 000000009268: 923D3D3C
	s_add_u32 s82, s82, s61                                    // 00000000926C: 80523D52
	v_mul_lo_u32 v7, v4, s82                                   // 000000009270: D2850007 0000A504
	v_add_u32_e32 v47, v6, v7                                  // 000000009278: 685E0F06
	v_readlane_b32 s82, v3, 4                                  // 00000000927C: D2890052 00010903
	s_lshr_b32 s61, s82, 24                                    // 000000009284: 8F3D9852
	s_and_b32 s82, s82, 0xffffff                               // 000000009288: 8652FF52 00FFFFFF
	s_mul_i32 s82, s82, s71                                    // 000000009290: 92524752
	s_mul_i32 s61, s60, s61                                    // 000000009294: 923D3D3C
	s_add_u32 s82, s82, s61                                    // 000000009298: 80523D52
	v_mul_lo_u32 v6, v5, s82                                   // 00000000929C: D2850006 0000A505
	v_readlane_b32 s82, v3, 5                                  // 0000000092A4: D2890052 00010B03
	s_lshr_b32 s61, s82, 24                                    // 0000000092AC: 8F3D9852
	s_and_b32 s82, s82, 0xffffff                               // 0000000092B0: 8652FF52 00FFFFFF
	s_mul_i32 s82, s82, s71                                    // 0000000092B8: 92524752
	s_mul_i32 s61, s60, s61                                    // 0000000092BC: 923D3D3C
	s_add_u32 s82, s82, s61                                    // 0000000092C0: 80523D52
	v_mul_lo_u32 v7, v4, s82                                   // 0000000092C4: D2850007 0000A504
	v_add_u32_e32 v48, v6, v7                                  // 0000000092CC: 68600F06
	v_readlane_b32 s82, v3, 6                                  // 0000000092D0: D2890052 00010D03
	s_lshr_b32 s61, s82, 24                                    // 0000000092D8: 8F3D9852
	s_and_b32 s82, s82, 0xffffff                               // 0000000092DC: 8652FF52 00FFFFFF
	s_mul_i32 s82, s82, s71                                    // 0000000092E4: 92524752
	s_mul_i32 s61, s60, s61                                    // 0000000092E8: 923D3D3C
	s_add_u32 s82, s82, s61                                    // 0000000092EC: 80523D52
	v_mul_lo_u32 v6, v5, s82                                   // 0000000092F0: D2850006 0000A505
	v_readlane_b32 s82, v3, 7                                  // 0000000092F8: D2890052 00010F03
	s_lshr_b32 s61, s82, 24                                    // 000000009300: 8F3D9852
	s_and_b32 s82, s82, 0xffffff                               // 000000009304: 8652FF52 00FFFFFF
	s_mul_i32 s82, s82, s71                                    // 00000000930C: 92524752
	s_mul_i32 s61, s60, s61                                    // 000000009310: 923D3D3C
	s_add_u32 s82, s82, s61                                    // 000000009314: 80523D52
	v_mul_lo_u32 v7, v4, s82                                   // 000000009318: D2850007 0000A504
	v_add_u32_e32 v49, v6, v7                                  // 000000009320: 68620F06
	v_readlane_b32 s82, v3, 8                                  // 000000009324: D2890052 00011103
	s_lshr_b32 s61, s82, 24                                    // 00000000932C: 8F3D9852
	s_and_b32 s82, s82, 0xffffff                               // 000000009330: 8652FF52 00FFFFFF
	s_mul_i32 s82, s82, s71                                    // 000000009338: 92524752
	s_mul_i32 s61, s60, s61                                    // 00000000933C: 923D3D3C
	s_add_u32 s82, s82, s61                                    // 000000009340: 80523D52
	v_mul_lo_u32 v6, v5, s82                                   // 000000009344: D2850006 0000A505
	v_readlane_b32 s82, v3, 9                                  // 00000000934C: D2890052 00011303
	s_lshr_b32 s61, s82, 24                                    // 000000009354: 8F3D9852
	s_and_b32 s82, s82, 0xffffff                               // 000000009358: 8652FF52 00FFFFFF
	s_mul_i32 s82, s82, s71                                    // 000000009360: 92524752
	s_mul_i32 s61, s60, s61                                    // 000000009364: 923D3D3C
	s_add_u32 s82, s82, s61                                    // 000000009368: 80523D52
	v_mul_lo_u32 v7, v4, s82                                   // 00000000936C: D2850007 0000A504
	v_add_u32_e32 v50, v6, v7                                  // 000000009374: 68640F06
	v_readlane_b32 s82, v3, 10                                 // 000000009378: D2890052 00011503
	s_lshr_b32 s61, s82, 24                                    // 000000009380: 8F3D9852
	s_and_b32 s82, s82, 0xffffff                               // 000000009384: 8652FF52 00FFFFFF
	s_mul_i32 s82, s82, s71                                    // 00000000938C: 92524752
	s_mul_i32 s61, s60, s61                                    // 000000009390: 923D3D3C
	s_add_u32 s82, s82, s61                                    // 000000009394: 80523D52
	v_mul_lo_u32 v6, v5, s82                                   // 000000009398: D2850006 0000A505
	v_readlane_b32 s82, v3, 11                                 // 0000000093A0: D2890052 00011703
	s_lshr_b32 s61, s82, 24                                    // 0000000093A8: 8F3D9852
	s_and_b32 s82, s82, 0xffffff                               // 0000000093AC: 8652FF52 00FFFFFF
	s_mul_i32 s82, s82, s71                                    // 0000000093B4: 92524752
	s_mul_i32 s61, s60, s61                                    // 0000000093B8: 923D3D3C
	s_add_u32 s82, s82, s61                                    // 0000000093BC: 80523D52
	v_mul_lo_u32 v7, v4, s82                                   // 0000000093C0: D2850007 0000A504
	v_add_u32_e32 v51, v6, v7                                  // 0000000093C8: 68660F06
	v_readlane_b32 s82, v3, 12                                 // 0000000093CC: D2890052 00011903
	s_lshr_b32 s61, s82, 24                                    // 0000000093D4: 8F3D9852
	s_and_b32 s82, s82, 0xffffff                               // 0000000093D8: 8652FF52 00FFFFFF
	s_mul_i32 s82, s82, s71                                    // 0000000093E0: 92524752
	s_mul_i32 s61, s60, s61                                    // 0000000093E4: 923D3D3C
	s_add_u32 s82, s82, s61                                    // 0000000093E8: 80523D52
	v_mul_lo_u32 v6, v5, s82                                   // 0000000093EC: D2850006 0000A505
	v_readlane_b32 s82, v3, 13                                 // 0000000093F4: D2890052 00011B03
	s_lshr_b32 s61, s82, 24                                    // 0000000093FC: 8F3D9852
	s_and_b32 s82, s82, 0xffffff                               // 000000009400: 8652FF52 00FFFFFF
	s_mul_i32 s82, s82, s71                                    // 000000009408: 92524752
	s_mul_i32 s61, s60, s61                                    // 00000000940C: 923D3D3C
	s_add_u32 s82, s82, s61                                    // 000000009410: 80523D52
	v_mul_lo_u32 v7, v4, s82                                   // 000000009414: D2850007 0000A504
	v_add_u32_e32 v52, v6, v7                                  // 00000000941C: 68680F06
	v_readlane_b32 s82, v3, 14                                 // 000000009420: D2890052 00011D03
	s_lshr_b32 s61, s82, 24                                    // 000000009428: 8F3D9852
	s_and_b32 s82, s82, 0xffffff                               // 00000000942C: 8652FF52 00FFFFFF
	s_mul_i32 s82, s82, s71                                    // 000000009434: 92524752
	s_mul_i32 s61, s60, s61                                    // 000000009438: 923D3D3C
	s_add_u32 s82, s82, s61                                    // 00000000943C: 80523D52
	v_mul_lo_u32 v6, v5, s82                                   // 000000009440: D2850006 0000A505
	v_readlane_b32 s82, v3, 15                                 // 000000009448: D2890052 00011F03
	s_lshr_b32 s61, s82, 24                                    // 000000009450: 8F3D9852
	s_and_b32 s82, s82, 0xffffff                               // 000000009454: 8652FF52 00FFFFFF
	s_mul_i32 s82, s82, s71                                    // 00000000945C: 92524752
	s_mul_i32 s61, s60, s61                                    // 000000009460: 923D3D3C
	s_add_u32 s82, s82, s61                                    // 000000009464: 80523D52
	v_mul_lo_u32 v7, v4, s82                                   // 000000009468: D2850007 0000A504
	v_add_u32_e32 v53, v6, v7                                  // 000000009470: 686A0F06
	v_and_b32_e32 v4, 31, v0                                   // 000000009474: 2608009F
	v_lshrrev_b32_e32 v4, 1, v4                                // 000000009478: 20080881
	s_cmp_eq_u32 s88, 0                                        // 00000000947C: BF068058
	s_cselect_b32 s61, 2, 4                                    // 000000009480: 853D8482
	v_mul_lo_u32 v4, v4, s61                                   // 000000009484: D2850004 00007B04
	v_and_b32_e64 v5, v0, 1                                    // 00000000948C: D1130005 00010300
	v_add_u32_e32 v4, v4, v5                                   // 000000009494: 68080B04
	v_lshlrev_b32_e32 v4, 2, v4                                // 000000009498: 24080882
	v_add_u32_e32 v46, v46, v4                                 // 00000000949C: 685C092E
	v_add_u32_e32 v47, v47, v4                                 // 0000000094A0: 685E092F
	v_add_u32_e32 v48, v48, v4                                 // 0000000094A4: 68600930
	v_add_u32_e32 v49, v49, v4                                 // 0000000094A8: 68620931
	v_add_u32_e32 v50, v50, v4                                 // 0000000094AC: 68640932
	v_add_u32_e32 v51, v51, v4                                 // 0000000094B0: 68660933
	v_add_u32_e32 v52, v52, v4                                 // 0000000094B4: 68680934
	v_add_u32_e32 v53, v53, v4                                 // 0000000094B8: 686A0935
	s_waitcnt lgkmcnt(0)                                       // 0000000094BC: BF8CC07F
	s_barrier                                                  // 0000000094C0: BF8A0000
	ds_read_b32 v60, v21                                       // 0000000094C4: D86C0000 3C000015
	ds_read_b32 v61, v21 offset:64                             // 0000000094CC: D86C0040 3D000015
	ds_read_b32 v62, v21 offset:2176                           // 0000000094D4: D86C0880 3E000015
	ds_read_b32 v63, v21 offset:2240                           // 0000000094DC: D86C08C0 3F000015
	ds_read_b32 v64, v21 offset:4352                           // 0000000094E4: D86C1100 40000015
	ds_read_b32 v65, v21 offset:4416                           // 0000000094EC: D86C1140 41000015
	ds_read_b32 v66, v21 offset:6528                           // 0000000094F4: D86C1980 42000015
	ds_read_b32 v67, v21 offset:6592                           // 0000000094FC: D86C19C0 43000015
	ds_read_b32 v68, v21 offset:8704                           // 000000009504: D86C2200 44000015
	ds_read_b32 v69, v21 offset:8768                           // 00000000950C: D86C2240 45000015
	ds_read_b32 v70, v21 offset:10880                          // 000000009514: D86C2A80 46000015
	ds_read_b32 v71, v21 offset:10944                          // 00000000951C: D86C2AC0 47000015
	ds_read_b32 v72, v21 offset:13056                          // 000000009524: D86C3300 48000015
	ds_read_b32 v73, v21 offset:13120                          // 00000000952C: D86C3340 49000015
	ds_read_b32 v74, v21 offset:15232                          // 000000009534: D86C3B80 4A000015
	ds_read_b32 v75, v21 offset:15296                          // 00000000953C: D86C3BC0 4B000015
	s_waitcnt lgkmcnt(0)                                       // 000000009544: BF8CC07F
	s_mov_b32 s36, -1                                          // 000000009548: BEA400C1
	s_mov_b32 s37, -1                                          // 00000000954C: BEA500C1
	v_mov_b32_e32 v7, 0                                        // 000000009550: 7E0E0280
	s_or_b32 s9, s9, 0x40000                                   // 000000009554: 8709FF09 00040000
	s_mov_b64 exec, s[36:37]                                   // 00000000955C: BEFE0124
	v_mov_b32_e32 v6, v46                                      // 000000009560: 7E0C032E
	s_mov_b64 s[60:61], 0                                      // 000000009564: BEBC0180
	v_readlane_b32 s82, v3, 0                                  // 000000009568: D2890052 00010103
	s_and_b32 s82, s82, 0xffffff                               // 000000009570: 8652FF52 00FFFFFF
	s_cmp_lt_u32 s82, s66                                      // 000000009578: BF0A4252
	s_cselect_b32 s20, s36, s60                                // 00000000957C: 85143C24
	v_readlane_b32 s82, v3, 1                                  // 000000009580: D2890052 00010303
	s_and_b32 s82, s82, 0xffffff                               // 000000009588: 8652FF52 00FFFFFF
	s_cmp_lt_u32 s82, s66                                      // 000000009590: BF0A4252
	s_cselect_b32 s21, s36, s60                                // 000000009594: 85153C24
	s_mov_b64 exec, s[20:21]                                   // 000000009598: BEFE0114
	buffer_store_dword v60, v6, s[8:11], 0 offen               // 00000000959C: E0701000 80023C06
	buffer_store_dword v62, v6, s[8:11], 0 offen offset:128    // 0000000095A4: E0701080 80023E06
	s_mov_b64 exec, s[36:37]                                   // 0000000095AC: BEFE0124
	v_mov_b32_e32 v6, v47                                      // 0000000095B0: 7E0C032F
	s_mov_b64 s[60:61], 0                                      // 0000000095B4: BEBC0180
	v_readlane_b32 s82, v3, 2                                  // 0000000095B8: D2890052 00010503
	s_and_b32 s82, s82, 0xffffff                               // 0000000095C0: 8652FF52 00FFFFFF
	s_cmp_lt_u32 s82, s66                                      // 0000000095C8: BF0A4252
	s_cselect_b32 s20, s36, s60                                // 0000000095CC: 85143C24
	v_readlane_b32 s82, v3, 3                                  // 0000000095D0: D2890052 00010703
	s_and_b32 s82, s82, 0xffffff                               // 0000000095D8: 8652FF52 00FFFFFF
	s_cmp_lt_u32 s82, s66                                      // 0000000095E0: BF0A4252
	s_cselect_b32 s21, s36, s60                                // 0000000095E4: 85153C24
	s_mov_b64 exec, s[20:21]                                   // 0000000095E8: BEFE0114
	buffer_store_dword v61, v6, s[8:11], 0 offen               // 0000000095EC: E0701000 80023D06
	buffer_store_dword v63, v6, s[8:11], 0 offen offset:128    // 0000000095F4: E0701080 80023F06
	s_mov_b64 exec, s[36:37]                                   // 0000000095FC: BEFE0124
	v_mov_b32_e32 v6, v48                                      // 000000009600: 7E0C0330
	s_mov_b64 s[60:61], 0                                      // 000000009604: BEBC0180
	v_readlane_b32 s82, v3, 4                                  // 000000009608: D2890052 00010903
	s_and_b32 s82, s82, 0xffffff                               // 000000009610: 8652FF52 00FFFFFF
	s_cmp_lt_u32 s82, s66                                      // 000000009618: BF0A4252
	s_cselect_b32 s20, s36, s60                                // 00000000961C: 85143C24
	v_readlane_b32 s82, v3, 5                                  // 000000009620: D2890052 00010B03
	s_and_b32 s82, s82, 0xffffff                               // 000000009628: 8652FF52 00FFFFFF
	s_cmp_lt_u32 s82, s66                                      // 000000009630: BF0A4252
	s_cselect_b32 s21, s36, s60                                // 000000009634: 85153C24
	s_mov_b64 exec, s[20:21]                                   // 000000009638: BEFE0114
	buffer_store_dword v64, v6, s[8:11], 0 offen               // 00000000963C: E0701000 80024006
	buffer_store_dword v66, v6, s[8:11], 0 offen offset:128    // 000000009644: E0701080 80024206
	s_mov_b64 exec, s[36:37]                                   // 00000000964C: BEFE0124
	v_mov_b32_e32 v6, v49                                      // 000000009650: 7E0C0331
	s_mov_b64 s[60:61], 0                                      // 000000009654: BEBC0180
	v_readlane_b32 s82, v3, 6                                  // 000000009658: D2890052 00010D03
	s_and_b32 s82, s82, 0xffffff                               // 000000009660: 8652FF52 00FFFFFF
	s_cmp_lt_u32 s82, s66                                      // 000000009668: BF0A4252
	s_cselect_b32 s20, s36, s60                                // 00000000966C: 85143C24
	v_readlane_b32 s82, v3, 7                                  // 000000009670: D2890052 00010F03
	s_and_b32 s82, s82, 0xffffff                               // 000000009678: 8652FF52 00FFFFFF
	s_cmp_lt_u32 s82, s66                                      // 000000009680: BF0A4252
	s_cselect_b32 s21, s36, s60                                // 000000009684: 85153C24
	s_mov_b64 exec, s[20:21]                                   // 000000009688: BEFE0114
	buffer_store_dword v65, v6, s[8:11], 0 offen               // 00000000968C: E0701000 80024106
	buffer_store_dword v67, v6, s[8:11], 0 offen offset:128    // 000000009694: E0701080 80024306
	s_mov_b64 exec, s[36:37]                                   // 00000000969C: BEFE0124
	v_mov_b32_e32 v6, v50                                      // 0000000096A0: 7E0C0332
	s_mov_b64 s[60:61], 0                                      // 0000000096A4: BEBC0180
	v_readlane_b32 s82, v3, 8                                  // 0000000096A8: D2890052 00011103
	s_and_b32 s82, s82, 0xffffff                               // 0000000096B0: 8652FF52 00FFFFFF
	s_cmp_lt_u32 s82, s66                                      // 0000000096B8: BF0A4252
	s_cselect_b32 s20, s36, s60                                // 0000000096BC: 85143C24
	v_readlane_b32 s82, v3, 9                                  // 0000000096C0: D2890052 00011303
	s_and_b32 s82, s82, 0xffffff                               // 0000000096C8: 8652FF52 00FFFFFF
	s_cmp_lt_u32 s82, s66                                      // 0000000096D0: BF0A4252
	s_cselect_b32 s21, s36, s60                                // 0000000096D4: 85153C24
	s_mov_b64 exec, s[20:21]                                   // 0000000096D8: BEFE0114
	buffer_store_dword v68, v6, s[8:11], 0 offen               // 0000000096DC: E0701000 80024406
	buffer_store_dword v70, v6, s[8:11], 0 offen offset:128    // 0000000096E4: E0701080 80024606
	s_mov_b64 exec, s[36:37]                                   // 0000000096EC: BEFE0124
	v_mov_b32_e32 v6, v51                                      // 0000000096F0: 7E0C0333
	s_mov_b64 s[60:61], 0                                      // 0000000096F4: BEBC0180
	v_readlane_b32 s82, v3, 10                                 // 0000000096F8: D2890052 00011503
	s_and_b32 s82, s82, 0xffffff                               // 000000009700: 8652FF52 00FFFFFF
	s_cmp_lt_u32 s82, s66                                      // 000000009708: BF0A4252
	s_cselect_b32 s20, s36, s60                                // 00000000970C: 85143C24
	v_readlane_b32 s82, v3, 11                                 // 000000009710: D2890052 00011703
	s_and_b32 s82, s82, 0xffffff                               // 000000009718: 8652FF52 00FFFFFF
	s_cmp_lt_u32 s82, s66                                      // 000000009720: BF0A4252
	s_cselect_b32 s21, s36, s60                                // 000000009724: 85153C24
	s_mov_b64 exec, s[20:21]                                   // 000000009728: BEFE0114
	buffer_store_dword v69, v6, s[8:11], 0 offen               // 00000000972C: E0701000 80024506
	buffer_store_dword v71, v6, s[8:11], 0 offen offset:128    // 000000009734: E0701080 80024706
	s_mov_b64 exec, s[36:37]                                   // 00000000973C: BEFE0124
	v_mov_b32_e32 v6, v52                                      // 000000009740: 7E0C0334
	s_mov_b64 s[60:61], 0                                      // 000000009744: BEBC0180
	v_readlane_b32 s82, v3, 12                                 // 000000009748: D2890052 00011903
	s_and_b32 s82, s82, 0xffffff                               // 000000009750: 8652FF52 00FFFFFF
	s_cmp_lt_u32 s82, s66                                      // 000000009758: BF0A4252
	s_cselect_b32 s20, s36, s60                                // 00000000975C: 85143C24
	v_readlane_b32 s82, v3, 13                                 // 000000009760: D2890052 00011B03
	s_and_b32 s82, s82, 0xffffff                               // 000000009768: 8652FF52 00FFFFFF
	s_cmp_lt_u32 s82, s66                                      // 000000009770: BF0A4252
	s_cselect_b32 s21, s36, s60                                // 000000009774: 85153C24
	s_mov_b64 exec, s[20:21]                                   // 000000009778: BEFE0114
	buffer_store_dword v72, v6, s[8:11], 0 offen               // 00000000977C: E0701000 80024806
	buffer_store_dword v74, v6, s[8:11], 0 offen offset:128    // 000000009784: E0701080 80024A06
	s_mov_b64 exec, s[36:37]                                   // 00000000978C: BEFE0124
	v_mov_b32_e32 v6, v53                                      // 000000009790: 7E0C0335
	s_mov_b64 s[60:61], 0                                      // 000000009794: BEBC0180
	v_readlane_b32 s82, v3, 14                                 // 000000009798: D2890052 00011D03
	s_and_b32 s82, s82, 0xffffff                               // 0000000097A0: 8652FF52 00FFFFFF
	s_cmp_lt_u32 s82, s66                                      // 0000000097A8: BF0A4252
	s_cselect_b32 s20, s36, s60                                // 0000000097AC: 85143C24
	v_readlane_b32 s82, v3, 15                                 // 0000000097B0: D2890052 00011F03
	s_and_b32 s82, s82, 0xffffff                               // 0000000097B8: 8652FF52 00FFFFFF
	s_cmp_lt_u32 s82, s66                                      // 0000000097C0: BF0A4252
	s_cselect_b32 s21, s36, s60                                // 0000000097C4: 85153C24
	s_mov_b64 exec, s[20:21]                                   // 0000000097C8: BEFE0114
	buffer_store_dword v73, v6, s[8:11], 0 offen               // 0000000097CC: E0701000 80024906
	buffer_store_dword v75, v6, s[8:11], 0 offen offset:128    // 0000000097D4: E0701080 80024B06
	s_mov_b64 exec, s[36:37]                                   // 0000000097DC: BEFE0124
	s_cmp_eq_u32 s7, 0                                         // 0000000097E0: BF068007
	s_cbranch_scc0 label_3F60                                  // 0000000097E4: BF8423E3
	s_waitcnt vmcnt(16)                                        // 0000000097E8: BF8C4F70
	s_mov_b32 s8, s90                                          // 0000000097EC: BE88005A
	s_mov_b32 s9, s91                                          // 0000000097F0: BE89005B
	s_mul_i32 s60, s66, s71                                    // 0000000097F4: 923C4742
	s_add_u32 s8, s60, s8                                      // 0000000097F8: 8008083C
	s_addc_u32 s9, 0, s9                                       // 0000000097FC: 82090980
	s_lshr_b32 s71, s71, 5                                     // 000000009800: 8F478547
	s_mul_i32 s60, s66, s71                                    // 000000009804: 923C4742
	s_mov_b32 s10, s60                                         // 000000009808: BE8A003C
	s_lshr_b32 s61, s65, 5                                     // 00000000980C: 8F3D8541
	s_mul_i32 s60, s2, 8                                       // 000000009810: 923C8802
	v_lshrrev_b32_e32 v4, 24, v30                              // 000000009814: 20083C98
	v_mul_lo_u32 v4, s61, v4                                   // 000000009818: D2850004 0002083D
	v_and_b32_e32 v30, 0xffffff, v30                           // 000000009820: 263C3CFF 00FFFFFF
	v_mul_lo_u32 v30, s71, v30                                 // 000000009828: D285001E 00023C47
	v_add_u32_e32 v30, v4, v30                                 // 000000009830: 683C3D04
	v_add_u32_e32 v30, s60, v30                                // 000000009834: 683C3C3C
	v_lshrrev_b32_e32 v4, 24, v31                              // 000000009838: 20083E98
	v_mul_lo_u32 v4, s61, v4                                   // 00000000983C: D2850004 0002083D
	v_and_b32_e32 v31, 0xffffff, v31                           // 000000009844: 263E3EFF 00FFFFFF
	v_mul_lo_u32 v31, s71, v31                                 // 00000000984C: D285001F 00023E47
	v_add_u32_e32 v31, v4, v31                                 // 000000009854: 683E3F04
	v_add_u32_e32 v31, s60, v31                                // 000000009858: 683E3E3C
	v_lshrrev_b32_e32 v4, 24, v32                              // 00000000985C: 20084098
	v_mul_lo_u32 v4, s61, v4                                   // 000000009860: D2850004 0002083D
	v_and_b32_e32 v32, 0xffffff, v32                           // 000000009868: 264040FF 00FFFFFF
	v_mul_lo_u32 v32, s71, v32                                 // 000000009870: D2850020 00024047
	v_add_u32_e32 v32, v4, v32                                 // 000000009878: 68404104
	v_add_u32_e32 v32, s60, v32                                // 00000000987C: 6840403C
	v_lshrrev_b32_e32 v4, 24, v33                              // 000000009880: 20084298
	v_mul_lo_u32 v4, s61, v4                                   // 000000009884: D2850004 0002083D
	v_and_b32_e32 v33, 0xffffff, v33                           // 00000000988C: 264242FF 00FFFFFF
	v_mul_lo_u32 v33, s71, v33                                 // 000000009894: D2850021 00024247
	v_add_u32_e32 v33, v4, v33                                 // 00000000989C: 68424304
	v_add_u32_e32 v33, s60, v33                                // 0000000098A0: 6842423C
	s_mov_b64 exec, 0xffff                                     // 0000000098A4: BEFE01FF 0000FFFF
	buffer_store_dword v124, v30, s[8:11], 0 offen             // 0000000098AC: E0701000 80027C1E
	buffer_store_dword v128, v30, s[8:11], 0 offen offset:4    // 0000000098B4: E0701004 8002801E
	buffer_store_dword v125, v31, s[8:11], 0 offen             // 0000000098BC: E0701000 80027D1F
	buffer_store_dword v129, v31, s[8:11], 0 offen offset:4    // 0000000098C4: E0701004 8002811F
	buffer_store_dword v126, v32, s[8:11], 0 offen             // 0000000098CC: E0701000 80027E20
	buffer_store_dword v130, v32, s[8:11], 0 offen offset:4    // 0000000098D4: E0701004 80028220
	buffer_store_dword v127, v33, s[8:11], 0 offen             // 0000000098DC: E0701000 80027F21
	buffer_store_dword v131, v33, s[8:11], 0 offen offset:4    // 0000000098E4: E0701004 80028321
	s_mov_b64 exec, s[36:37]                                   // 0000000098EC: BEFE0124
	s_branch label_3F60                                        // 0000000098F0: BF8223A0

00000000000098f4 <label_1BBD>:
	ds_write_b64 v20, v[60:61]                                 // 0000000098F4: D89A0000 00003C14
	ds_write_b64 v20, v[64:65] offset:8704                     // 0000000098FC: D89A2200 00004014
	ds_write_b64 v20, v[68:69] offset:17408                    // 000000009904: D89A4400 00004414
	ds_write_b64 v20, v[72:73] offset:26112                    // 00000000990C: D89A6600 00004814
	ds_write_b64 v20, v[76:77] offset:2176                     // 000000009914: D89A0880 00004C14
	ds_write_b64 v20, v[80:81] offset:10880                    // 00000000991C: D89A2A80 00005014
	ds_write_b64 v20, v[84:85] offset:19584                    // 000000009924: D89A4C80 00005414
	ds_write_b64 v20, v[88:89] offset:28288                    // 00000000992C: D89A6E80 00005814
	ds_write_b64 v20, v[92:93] offset:4352                     // 000000009934: D89A1100 00005C14
	ds_write_b64 v20, v[96:97] offset:13056                    // 00000000993C: D89A3300 00006014
	ds_write_b64 v20, v[100:101] offset:21760                  // 000000009944: D89A5500 00006414
	ds_write_b64 v20, v[104:105] offset:30464                  // 00000000994C: D89A7700 00006814
	ds_write_b64 v20, v[108:109] offset:6528                   // 000000009954: D89A1980 00006C14
	ds_write_b64 v20, v[112:113] offset:15232                  // 00000000995C: D89A3B80 00007014
	ds_write_b64 v20, v[116:117] offset:23936                  // 000000009964: D89A5D80 00007414
	ds_write_b64 v20, v[120:121] offset:32640                  // 00000000996C: D89A7F80 00007814
	v_lshrrev_b32_e32 v4, 5, v0                                // 000000009974: 20080085
	v_xor_b32_e32 v5, 1, v4                                    // 000000009978: 2A0A0881
	s_mul_i32 s60, s65, 1                                      // 00000000997C: 923C8141
	s_cmp_eq_u32 s88, 0                                        // 000000009980: BF068058
	s_cselect_b32 s61, 1, 8                                    // 000000009984: 853D8881
	s_mul_i32 s60, s61, s60                                    // 000000009988: 923C3C3D
	v_readlane_b32 s82, v3, 0                                  // 00000000998C: D2890052 00010103
	s_lshr_b32 s61, s82, 24                                    // 000000009994: 8F3D9852
	s_and_b32 s82, s82, 0xffffff                               // 000000009998: 8652FF52 00FFFFFF
	s_mul_i32 s82, s82, s71                                    // 0000000099A0: 92524752
	s_mul_i32 s61, s60, s61                                    // 0000000099A4: 923D3D3C
	s_add_u32 s82, s82, s61                                    // 0000000099A8: 80523D52
	v_mul_lo_u32 v6, v5, s82                                   // 0000000099AC: D2850006 0000A505
	v_readlane_b32 s82, v3, 1                                  // 0000000099B4: D2890052 00010303
	s_lshr_b32 s61, s82, 24                                    // 0000000099BC: 8F3D9852
	s_and_b32 s82, s82, 0xffffff                               // 0000000099C0: 8652FF52 00FFFFFF
	s_mul_i32 s82, s82, s71                                    // 0000000099C8: 92524752
	s_mul_i32 s61, s60, s61                                    // 0000000099CC: 923D3D3C
	s_add_u32 s82, s82, s61                                    // 0000000099D0: 80523D52
	v_mul_lo_u32 v7, v4, s82                                   // 0000000099D4: D2850007 0000A504
	v_add_u32_e32 v46, v6, v7                                  // 0000000099DC: 685C0F06
	v_readlane_b32 s82, v3, 2                                  // 0000000099E0: D2890052 00010503
	s_lshr_b32 s61, s82, 24                                    // 0000000099E8: 8F3D9852
	s_and_b32 s82, s82, 0xffffff                               // 0000000099EC: 8652FF52 00FFFFFF
	s_mul_i32 s82, s82, s71                                    // 0000000099F4: 92524752
	s_mul_i32 s61, s60, s61                                    // 0000000099F8: 923D3D3C
	s_add_u32 s82, s82, s61                                    // 0000000099FC: 80523D52
	v_mul_lo_u32 v6, v5, s82                                   // 000000009A00: D2850006 0000A505
	v_readlane_b32 s82, v3, 3                                  // 000000009A08: D2890052 00010703
	s_lshr_b32 s61, s82, 24                                    // 000000009A10: 8F3D9852
	s_and_b32 s82, s82, 0xffffff                               // 000000009A14: 8652FF52 00FFFFFF
	s_mul_i32 s82, s82, s71                                    // 000000009A1C: 92524752
	s_mul_i32 s61, s60, s61                                    // 000000009A20: 923D3D3C
	s_add_u32 s82, s82, s61                                    // 000000009A24: 80523D52
	v_mul_lo_u32 v7, v4, s82                                   // 000000009A28: D2850007 0000A504
	v_add_u32_e32 v47, v6, v7                                  // 000000009A30: 685E0F06
	v_readlane_b32 s82, v3, 4                                  // 000000009A34: D2890052 00010903
	s_lshr_b32 s61, s82, 24                                    // 000000009A3C: 8F3D9852
	s_and_b32 s82, s82, 0xffffff                               // 000000009A40: 8652FF52 00FFFFFF
	s_mul_i32 s82, s82, s71                                    // 000000009A48: 92524752
	s_mul_i32 s61, s60, s61                                    // 000000009A4C: 923D3D3C
	s_add_u32 s82, s82, s61                                    // 000000009A50: 80523D52
	v_mul_lo_u32 v6, v5, s82                                   // 000000009A54: D2850006 0000A505
	v_readlane_b32 s82, v3, 5                                  // 000000009A5C: D2890052 00010B03
	s_lshr_b32 s61, s82, 24                                    // 000000009A64: 8F3D9852
	s_and_b32 s82, s82, 0xffffff                               // 000000009A68: 8652FF52 00FFFFFF
	s_mul_i32 s82, s82, s71                                    // 000000009A70: 92524752
	s_mul_i32 s61, s60, s61                                    // 000000009A74: 923D3D3C
	s_add_u32 s82, s82, s61                                    // 000000009A78: 80523D52
	v_mul_lo_u32 v7, v4, s82                                   // 000000009A7C: D2850007 0000A504
	v_add_u32_e32 v48, v6, v7                                  // 000000009A84: 68600F06
	v_readlane_b32 s82, v3, 6                                  // 000000009A88: D2890052 00010D03
	s_lshr_b32 s61, s82, 24                                    // 000000009A90: 8F3D9852
	s_and_b32 s82, s82, 0xffffff                               // 000000009A94: 8652FF52 00FFFFFF
	s_mul_i32 s82, s82, s71                                    // 000000009A9C: 92524752
	s_mul_i32 s61, s60, s61                                    // 000000009AA0: 923D3D3C
	s_add_u32 s82, s82, s61                                    // 000000009AA4: 80523D52
	v_mul_lo_u32 v6, v5, s82                                   // 000000009AA8: D2850006 0000A505
	v_readlane_b32 s82, v3, 7                                  // 000000009AB0: D2890052 00010F03
	s_lshr_b32 s61, s82, 24                                    // 000000009AB8: 8F3D9852
	s_and_b32 s82, s82, 0xffffff                               // 000000009ABC: 8652FF52 00FFFFFF
	s_mul_i32 s82, s82, s71                                    // 000000009AC4: 92524752
	s_mul_i32 s61, s60, s61                                    // 000000009AC8: 923D3D3C
	s_add_u32 s82, s82, s61                                    // 000000009ACC: 80523D52
	v_mul_lo_u32 v7, v4, s82                                   // 000000009AD0: D2850007 0000A504
	v_add_u32_e32 v49, v6, v7                                  // 000000009AD8: 68620F06
	v_readlane_b32 s82, v3, 8                                  // 000000009ADC: D2890052 00011103
	s_lshr_b32 s61, s82, 24                                    // 000000009AE4: 8F3D9852
	s_and_b32 s82, s82, 0xffffff                               // 000000009AE8: 8652FF52 00FFFFFF
	s_mul_i32 s82, s82, s71                                    // 000000009AF0: 92524752
	s_mul_i32 s61, s60, s61                                    // 000000009AF4: 923D3D3C
	s_add_u32 s82, s82, s61                                    // 000000009AF8: 80523D52
	v_mul_lo_u32 v6, v5, s82                                   // 000000009AFC: D2850006 0000A505
	v_readlane_b32 s82, v3, 9                                  // 000000009B04: D2890052 00011303
	s_lshr_b32 s61, s82, 24                                    // 000000009B0C: 8F3D9852
	s_and_b32 s82, s82, 0xffffff                               // 000000009B10: 8652FF52 00FFFFFF
	s_mul_i32 s82, s82, s71                                    // 000000009B18: 92524752
	s_mul_i32 s61, s60, s61                                    // 000000009B1C: 923D3D3C
	s_add_u32 s82, s82, s61                                    // 000000009B20: 80523D52
	v_mul_lo_u32 v7, v4, s82                                   // 000000009B24: D2850007 0000A504
	v_add_u32_e32 v50, v6, v7                                  // 000000009B2C: 68640F06
	v_readlane_b32 s82, v3, 10                                 // 000000009B30: D2890052 00011503
	s_lshr_b32 s61, s82, 24                                    // 000000009B38: 8F3D9852
	s_and_b32 s82, s82, 0xffffff                               // 000000009B3C: 8652FF52 00FFFFFF
	s_mul_i32 s82, s82, s71                                    // 000000009B44: 92524752
	s_mul_i32 s61, s60, s61                                    // 000000009B48: 923D3D3C
	s_add_u32 s82, s82, s61                                    // 000000009B4C: 80523D52
	v_mul_lo_u32 v6, v5, s82                                   // 000000009B50: D2850006 0000A505
	v_readlane_b32 s82, v3, 11                                 // 000000009B58: D2890052 00011703
	s_lshr_b32 s61, s82, 24                                    // 000000009B60: 8F3D9852
	s_and_b32 s82, s82, 0xffffff                               // 000000009B64: 8652FF52 00FFFFFF
	s_mul_i32 s82, s82, s71                                    // 000000009B6C: 92524752
	s_mul_i32 s61, s60, s61                                    // 000000009B70: 923D3D3C
	s_add_u32 s82, s82, s61                                    // 000000009B74: 80523D52
	v_mul_lo_u32 v7, v4, s82                                   // 000000009B78: D2850007 0000A504
	v_add_u32_e32 v51, v6, v7                                  // 000000009B80: 68660F06
	v_readlane_b32 s82, v3, 12                                 // 000000009B84: D2890052 00011903
	s_lshr_b32 s61, s82, 24                                    // 000000009B8C: 8F3D9852
	s_and_b32 s82, s82, 0xffffff                               // 000000009B90: 8652FF52 00FFFFFF
	s_mul_i32 s82, s82, s71                                    // 000000009B98: 92524752
	s_mul_i32 s61, s60, s61                                    // 000000009B9C: 923D3D3C
	s_add_u32 s82, s82, s61                                    // 000000009BA0: 80523D52
	v_mul_lo_u32 v6, v5, s82                                   // 000000009BA4: D2850006 0000A505
	v_readlane_b32 s82, v3, 13                                 // 000000009BAC: D2890052 00011B03
	s_lshr_b32 s61, s82, 24                                    // 000000009BB4: 8F3D9852
	s_and_b32 s82, s82, 0xffffff                               // 000000009BB8: 8652FF52 00FFFFFF
	s_mul_i32 s82, s82, s71                                    // 000000009BC0: 92524752
	s_mul_i32 s61, s60, s61                                    // 000000009BC4: 923D3D3C
	s_add_u32 s82, s82, s61                                    // 000000009BC8: 80523D52
	v_mul_lo_u32 v7, v4, s82                                   // 000000009BCC: D2850007 0000A504
	v_add_u32_e32 v52, v6, v7                                  // 000000009BD4: 68680F06
	v_readlane_b32 s82, v3, 14                                 // 000000009BD8: D2890052 00011D03
	s_lshr_b32 s61, s82, 24                                    // 000000009BE0: 8F3D9852
	s_and_b32 s82, s82, 0xffffff                               // 000000009BE4: 8652FF52 00FFFFFF
	s_mul_i32 s82, s82, s71                                    // 000000009BEC: 92524752
	s_mul_i32 s61, s60, s61                                    // 000000009BF0: 923D3D3C
	s_add_u32 s82, s82, s61                                    // 000000009BF4: 80523D52
	v_mul_lo_u32 v6, v5, s82                                   // 000000009BF8: D2850006 0000A505
	v_readlane_b32 s82, v3, 15                                 // 000000009C00: D2890052 00011F03
	s_lshr_b32 s61, s82, 24                                    // 000000009C08: 8F3D9852
	s_and_b32 s82, s82, 0xffffff                               // 000000009C0C: 8652FF52 00FFFFFF
	s_mul_i32 s82, s82, s71                                    // 000000009C14: 92524752
	s_mul_i32 s61, s60, s61                                    // 000000009C18: 923D3D3C
	s_add_u32 s82, s82, s61                                    // 000000009C1C: 80523D52
	v_mul_lo_u32 v7, v4, s82                                   // 000000009C20: D2850007 0000A504
	v_add_u32_e32 v53, v6, v7                                  // 000000009C28: 686A0F06
	v_and_b32_e32 v4, 31, v0                                   // 000000009C2C: 2608009F
	v_lshrrev_b32_e32 v4, 1, v4                                // 000000009C30: 20080881
	s_cmp_eq_u32 s88, 0                                        // 000000009C34: BF068058
	s_cselect_b32 s61, 2, 4                                    // 000000009C38: 853D8482
	v_mul_lo_u32 v4, v4, s61                                   // 000000009C3C: D2850004 00007B04
	v_and_b32_e64 v5, v0, 1                                    // 000000009C44: D1130005 00010300
	v_add_u32_e32 v4, v4, v5                                   // 000000009C4C: 68080B04
	v_lshlrev_b32_e32 v4, 2, v4                                // 000000009C50: 24080882
	v_add_u32_e32 v46, v46, v4                                 // 000000009C54: 685C092E
	v_add_u32_e32 v47, v47, v4                                 // 000000009C58: 685E092F
	v_add_u32_e32 v48, v48, v4                                 // 000000009C5C: 68600930
	v_add_u32_e32 v49, v49, v4                                 // 000000009C60: 68620931
	v_add_u32_e32 v50, v50, v4                                 // 000000009C64: 68640932
	v_add_u32_e32 v51, v51, v4                                 // 000000009C68: 68660933
	v_add_u32_e32 v52, v52, v4                                 // 000000009C6C: 68680934
	v_add_u32_e32 v53, v53, v4                                 // 000000009C70: 686A0935
	s_waitcnt lgkmcnt(0)                                       // 000000009C74: BF8CC07F
	s_barrier                                                  // 000000009C78: BF8A0000
	ds_read_b32 v60, v21                                       // 000000009C7C: D86C0000 3C000015
	ds_read_b32 v61, v21 offset:64                             // 000000009C84: D86C0040 3D000015
	ds_read_b32 v64, v21 offset:2176                           // 000000009C8C: D86C0880 40000015
	ds_read_b32 v65, v21 offset:2240                           // 000000009C94: D86C08C0 41000015
	ds_read_b32 v68, v21 offset:4352                           // 000000009C9C: D86C1100 44000015
	ds_read_b32 v69, v21 offset:4416                           // 000000009CA4: D86C1140 45000015
	ds_read_b32 v72, v21 offset:6528                           // 000000009CAC: D86C1980 48000015
	ds_read_b32 v73, v21 offset:6592                           // 000000009CB4: D86C19C0 49000015
	ds_read_b32 v76, v21 offset:8704                           // 000000009CBC: D86C2200 4C000015
	ds_read_b32 v77, v21 offset:8768                           // 000000009CC4: D86C2240 4D000015
	ds_read_b32 v80, v21 offset:10880                          // 000000009CCC: D86C2A80 50000015
	ds_read_b32 v81, v21 offset:10944                          // 000000009CD4: D86C2AC0 51000015
	ds_read_b32 v84, v21 offset:13056                          // 000000009CDC: D86C3300 54000015
	ds_read_b32 v85, v21 offset:13120                          // 000000009CE4: D86C3340 55000015
	ds_read_b32 v88, v21 offset:15232                          // 000000009CEC: D86C3B80 58000015
	ds_read_b32 v89, v21 offset:15296                          // 000000009CF4: D86C3BC0 59000015
	ds_read_b32 v92, v21 offset:17408                          // 000000009CFC: D86C4400 5C000015
	ds_read_b32 v93, v21 offset:17472                          // 000000009D04: D86C4440 5D000015
	ds_read_b32 v96, v21 offset:19584                          // 000000009D0C: D86C4C80 60000015
	ds_read_b32 v97, v21 offset:19648                          // 000000009D14: D86C4CC0 61000015
	ds_read_b32 v100, v21 offset:21760                         // 000000009D1C: D86C5500 64000015
	ds_read_b32 v101, v21 offset:21824                         // 000000009D24: D86C5540 65000015
	ds_read_b32 v104, v21 offset:23936                         // 000000009D2C: D86C5D80 68000015
	ds_read_b32 v105, v21 offset:24000                         // 000000009D34: D86C5DC0 69000015
	ds_read_b32 v108, v21 offset:26112                         // 000000009D3C: D86C6600 6C000015
	ds_read_b32 v109, v21 offset:26176                         // 000000009D44: D86C6640 6D000015
	ds_read_b32 v112, v21 offset:28288                         // 000000009D4C: D86C6E80 70000015
	ds_read_b32 v113, v21 offset:28352                         // 000000009D54: D86C6EC0 71000015
	ds_read_b32 v116, v21 offset:30464                         // 000000009D5C: D86C7700 74000015
	ds_read_b32 v117, v21 offset:30528                         // 000000009D64: D86C7740 75000015
	ds_read_b32 v120, v21 offset:32640                         // 000000009D6C: D86C7F80 78000015
	ds_read_b32 v121, v21 offset:32704                         // 000000009D74: D86C7FC0 79000015
	s_waitcnt lgkmcnt(0)                                       // 000000009D7C: BF8CC07F
	s_mov_b32 s36, -1                                          // 000000009D80: BEA400C1
	s_mov_b32 s37, -1                                          // 000000009D84: BEA500C1
	v_mov_b32_e32 v7, 0                                        // 000000009D88: 7E0E0280
	s_mov_b64 exec, s[36:37]                                   // 000000009D8C: BEFE0124
	v_mov_b32_e32 v6, v46                                      // 000000009D90: 7E0C032E
	s_mov_b64 s[60:61], 0                                      // 000000009D94: BEBC0180
	v_readlane_b32 s82, v3, 0                                  // 000000009D98: D2890052 00010103
	s_and_b32 s82, s82, 0xffffff                               // 000000009DA0: 8652FF52 00FFFFFF
	s_cmp_lt_u32 s82, s66                                      // 000000009DA8: BF0A4252
	s_cselect_b32 s20, s36, s60                                // 000000009DAC: 85143C24
	v_readlane_b32 s82, v3, 1                                  // 000000009DB0: D2890052 00010303
	s_and_b32 s82, s82, 0xffffff                               // 000000009DB8: 8652FF52 00FFFFFF
	s_cmp_lt_u32 s82, s66                                      // 000000009DC0: BF0A4252
	s_cselect_b32 s21, s36, s60                                // 000000009DC4: 85153C24
	s_mov_b64 exec, s[20:21]                                   // 000000009DC8: BEFE0114
	global_atomic_add_f32 v6, v60, s[8:9]                      // 000000009DCC: DD348000 00083C06
	global_atomic_add_f32 v6, v64, s[8:9] offset:256           // 000000009DD4: DD348100 00084006
	global_atomic_add_f32 v6, v68, s[8:9] offset:512           // 000000009DDC: DD348200 00084406
	global_atomic_add_f32 v6, v72, s[8:9] offset:768           // 000000009DE4: DD348300 00084806
	s_mov_b64 exec, s[36:37]                                   // 000000009DEC: BEFE0124
	v_mov_b32_e32 v6, v47                                      // 000000009DF0: 7E0C032F
	s_mov_b64 s[60:61], 0                                      // 000000009DF4: BEBC0180
	v_readlane_b32 s82, v3, 2                                  // 000000009DF8: D2890052 00010503
	s_and_b32 s82, s82, 0xffffff                               // 000000009E00: 8652FF52 00FFFFFF
	s_cmp_lt_u32 s82, s66                                      // 000000009E08: BF0A4252
	s_cselect_b32 s20, s36, s60                                // 000000009E0C: 85143C24
	v_readlane_b32 s82, v3, 3                                  // 000000009E10: D2890052 00010703
	s_and_b32 s82, s82, 0xffffff                               // 000000009E18: 8652FF52 00FFFFFF
	s_cmp_lt_u32 s82, s66                                      // 000000009E20: BF0A4252
	s_cselect_b32 s21, s36, s60                                // 000000009E24: 85153C24
	s_mov_b64 exec, s[20:21]                                   // 000000009E28: BEFE0114
	global_atomic_add_f32 v6, v61, s[8:9]                      // 000000009E2C: DD348000 00083D06
	global_atomic_add_f32 v6, v65, s[8:9] offset:256           // 000000009E34: DD348100 00084106
	global_atomic_add_f32 v6, v69, s[8:9] offset:512           // 000000009E3C: DD348200 00084506
	global_atomic_add_f32 v6, v73, s[8:9] offset:768           // 000000009E44: DD348300 00084906
	s_mov_b64 exec, s[36:37]                                   // 000000009E4C: BEFE0124
	v_mov_b32_e32 v6, v48                                      // 000000009E50: 7E0C0330
	s_mov_b64 s[60:61], 0                                      // 000000009E54: BEBC0180
	v_readlane_b32 s82, v3, 4                                  // 000000009E58: D2890052 00010903
	s_and_b32 s82, s82, 0xffffff                               // 000000009E60: 8652FF52 00FFFFFF
	s_cmp_lt_u32 s82, s66                                      // 000000009E68: BF0A4252
	s_cselect_b32 s20, s36, s60                                // 000000009E6C: 85143C24
	v_readlane_b32 s82, v3, 5                                  // 000000009E70: D2890052 00010B03
	s_and_b32 s82, s82, 0xffffff                               // 000000009E78: 8652FF52 00FFFFFF
	s_cmp_lt_u32 s82, s66                                      // 000000009E80: BF0A4252
	s_cselect_b32 s21, s36, s60                                // 000000009E84: 85153C24
	s_mov_b64 exec, s[20:21]                                   // 000000009E88: BEFE0114
	global_atomic_add_f32 v6, v76, s[8:9]                      // 000000009E8C: DD348000 00084C06
	global_atomic_add_f32 v6, v80, s[8:9] offset:256           // 000000009E94: DD348100 00085006
	global_atomic_add_f32 v6, v84, s[8:9] offset:512           // 000000009E9C: DD348200 00085406
	global_atomic_add_f32 v6, v88, s[8:9] offset:768           // 000000009EA4: DD348300 00085806
	s_mov_b64 exec, s[36:37]                                   // 000000009EAC: BEFE0124
	v_mov_b32_e32 v6, v49                                      // 000000009EB0: 7E0C0331
	s_mov_b64 s[60:61], 0                                      // 000000009EB4: BEBC0180
	v_readlane_b32 s82, v3, 6                                  // 000000009EB8: D2890052 00010D03
	s_and_b32 s82, s82, 0xffffff                               // 000000009EC0: 8652FF52 00FFFFFF
	s_cmp_lt_u32 s82, s66                                      // 000000009EC8: BF0A4252
	s_cselect_b32 s20, s36, s60                                // 000000009ECC: 85143C24
	v_readlane_b32 s82, v3, 7                                  // 000000009ED0: D2890052 00010F03
	s_and_b32 s82, s82, 0xffffff                               // 000000009ED8: 8652FF52 00FFFFFF
	s_cmp_lt_u32 s82, s66                                      // 000000009EE0: BF0A4252
	s_cselect_b32 s21, s36, s60                                // 000000009EE4: 85153C24
	s_mov_b64 exec, s[20:21]                                   // 000000009EE8: BEFE0114
	global_atomic_add_f32 v6, v77, s[8:9]                      // 000000009EEC: DD348000 00084D06
	global_atomic_add_f32 v6, v81, s[8:9] offset:256           // 000000009EF4: DD348100 00085106
	global_atomic_add_f32 v6, v85, s[8:9] offset:512           // 000000009EFC: DD348200 00085506
	global_atomic_add_f32 v6, v89, s[8:9] offset:768           // 000000009F04: DD348300 00085906
	s_mov_b64 exec, s[36:37]                                   // 000000009F0C: BEFE0124
	v_mov_b32_e32 v6, v50                                      // 000000009F10: 7E0C0332
	s_mov_b64 s[60:61], 0                                      // 000000009F14: BEBC0180
	v_readlane_b32 s82, v3, 8                                  // 000000009F18: D2890052 00011103
	s_and_b32 s82, s82, 0xffffff                               // 000000009F20: 8652FF52 00FFFFFF
	s_cmp_lt_u32 s82, s66                                      // 000000009F28: BF0A4252
	s_cselect_b32 s20, s36, s60                                // 000000009F2C: 85143C24
	v_readlane_b32 s82, v3, 9                                  // 000000009F30: D2890052 00011303
	s_and_b32 s82, s82, 0xffffff                               // 000000009F38: 8652FF52 00FFFFFF
	s_cmp_lt_u32 s82, s66                                      // 000000009F40: BF0A4252
	s_cselect_b32 s21, s36, s60                                // 000000009F44: 85153C24
	s_mov_b64 exec, s[20:21]                                   // 000000009F48: BEFE0114
	global_atomic_add_f32 v6, v92, s[8:9]                      // 000000009F4C: DD348000 00085C06
	global_atomic_add_f32 v6, v96, s[8:9] offset:256           // 000000009F54: DD348100 00086006
	global_atomic_add_f32 v6, v100, s[8:9] offset:512          // 000000009F5C: DD348200 00086406
	global_atomic_add_f32 v6, v104, s[8:9] offset:768          // 000000009F64: DD348300 00086806
	s_mov_b64 exec, s[36:37]                                   // 000000009F6C: BEFE0124
	v_mov_b32_e32 v6, v51                                      // 000000009F70: 7E0C0333
	s_mov_b64 s[60:61], 0                                      // 000000009F74: BEBC0180
	v_readlane_b32 s82, v3, 10                                 // 000000009F78: D2890052 00011503
	s_and_b32 s82, s82, 0xffffff                               // 000000009F80: 8652FF52 00FFFFFF
	s_cmp_lt_u32 s82, s66                                      // 000000009F88: BF0A4252
	s_cselect_b32 s20, s36, s60                                // 000000009F8C: 85143C24
	v_readlane_b32 s82, v3, 11                                 // 000000009F90: D2890052 00011703
	s_and_b32 s82, s82, 0xffffff                               // 000000009F98: 8652FF52 00FFFFFF
	s_cmp_lt_u32 s82, s66                                      // 000000009FA0: BF0A4252
	s_cselect_b32 s21, s36, s60                                // 000000009FA4: 85153C24
	s_mov_b64 exec, s[20:21]                                   // 000000009FA8: BEFE0114
	global_atomic_add_f32 v6, v93, s[8:9]                      // 000000009FAC: DD348000 00085D06
	global_atomic_add_f32 v6, v97, s[8:9] offset:256           // 000000009FB4: DD348100 00086106
	global_atomic_add_f32 v6, v101, s[8:9] offset:512          // 000000009FBC: DD348200 00086506
	global_atomic_add_f32 v6, v105, s[8:9] offset:768          // 000000009FC4: DD348300 00086906
	s_mov_b64 exec, s[36:37]                                   // 000000009FCC: BEFE0124
	v_mov_b32_e32 v6, v52                                      // 000000009FD0: 7E0C0334
	s_mov_b64 s[60:61], 0                                      // 000000009FD4: BEBC0180
	v_readlane_b32 s82, v3, 12                                 // 000000009FD8: D2890052 00011903
	s_and_b32 s82, s82, 0xffffff                               // 000000009FE0: 8652FF52 00FFFFFF
	s_cmp_lt_u32 s82, s66                                      // 000000009FE8: BF0A4252
	s_cselect_b32 s20, s36, s60                                // 000000009FEC: 85143C24
	v_readlane_b32 s82, v3, 13                                 // 000000009FF0: D2890052 00011B03
	s_and_b32 s82, s82, 0xffffff                               // 000000009FF8: 8652FF52 00FFFFFF
	s_cmp_lt_u32 s82, s66                                      // 00000000A000: BF0A4252
	s_cselect_b32 s21, s36, s60                                // 00000000A004: 85153C24
	s_mov_b64 exec, s[20:21]                                   // 00000000A008: BEFE0114
	global_atomic_add_f32 v6, v108, s[8:9]                     // 00000000A00C: DD348000 00086C06
	global_atomic_add_f32 v6, v112, s[8:9] offset:256          // 00000000A014: DD348100 00087006
	global_atomic_add_f32 v6, v116, s[8:9] offset:512          // 00000000A01C: DD348200 00087406
	global_atomic_add_f32 v6, v120, s[8:9] offset:768          // 00000000A024: DD348300 00087806
	s_mov_b64 exec, s[36:37]                                   // 00000000A02C: BEFE0124
	v_mov_b32_e32 v6, v53                                      // 00000000A030: 7E0C0335
	s_mov_b64 s[60:61], 0                                      // 00000000A034: BEBC0180
	v_readlane_b32 s82, v3, 14                                 // 00000000A038: D2890052 00011D03
	s_and_b32 s82, s82, 0xffffff                               // 00000000A040: 8652FF52 00FFFFFF
	s_cmp_lt_u32 s82, s66                                      // 00000000A048: BF0A4252
	s_cselect_b32 s20, s36, s60                                // 00000000A04C: 85143C24
	v_readlane_b32 s82, v3, 15                                 // 00000000A050: D2890052 00011F03
	s_and_b32 s82, s82, 0xffffff                               // 00000000A058: 8652FF52 00FFFFFF
	s_cmp_lt_u32 s82, s66                                      // 00000000A060: BF0A4252
	s_cselect_b32 s21, s36, s60                                // 00000000A064: 85153C24
	s_mov_b64 exec, s[20:21]                                   // 00000000A068: BEFE0114
	global_atomic_add_f32 v6, v109, s[8:9]                     // 00000000A06C: DD348000 00086D06
	global_atomic_add_f32 v6, v113, s[8:9] offset:256          // 00000000A074: DD348100 00087106
	global_atomic_add_f32 v6, v117, s[8:9] offset:512          // 00000000A07C: DD348200 00087506
	global_atomic_add_f32 v6, v121, s[8:9] offset:768          // 00000000A084: DD348300 00087906
	s_mov_b64 exec, s[36:37]                                   // 00000000A08C: BEFE0124
	ds_write_b64 v20, v[62:63]                                 // 00000000A090: D89A0000 00003E14
	ds_write_b64 v20, v[66:67] offset:8704                     // 00000000A098: D89A2200 00004214
	ds_write_b64 v20, v[70:71] offset:17408                    // 00000000A0A0: D89A4400 00004614
	ds_write_b64 v20, v[74:75] offset:26112                    // 00000000A0A8: D89A6600 00004A14
	ds_write_b64 v20, v[78:79] offset:2176                     // 00000000A0B0: D89A0880 00004E14
	ds_write_b64 v20, v[82:83] offset:10880                    // 00000000A0B8: D89A2A80 00005214
	ds_write_b64 v20, v[86:87] offset:19584                    // 00000000A0C0: D89A4C80 00005614
	ds_write_b64 v20, v[90:91] offset:28288                    // 00000000A0C8: D89A6E80 00005A14
	ds_write_b64 v20, v[94:95] offset:4352                     // 00000000A0D0: D89A1100 00005E14
	ds_write_b64 v20, v[98:99] offset:13056                    // 00000000A0D8: D89A3300 00006214
	ds_write_b64 v20, v[102:103] offset:21760                  // 00000000A0E0: D89A5500 00006614
	ds_write_b64 v20, v[106:107] offset:30464                  // 00000000A0E8: D89A7700 00006A14
	ds_write_b64 v20, v[110:111] offset:6528                   // 00000000A0F0: D89A1980 00006E14
	ds_write_b64 v20, v[114:115] offset:15232                  // 00000000A0F8: D89A3B80 00007214
	ds_write_b64 v20, v[118:119] offset:23936                  // 00000000A100: D89A5D80 00007614
	ds_write_b64 v20, v[122:123] offset:32640                  // 00000000A108: D89A7F80 00007A14
	s_waitcnt lgkmcnt(0)                                       // 00000000A110: BF8CC07F
	s_barrier                                                  // 00000000A114: BF8A0000
	ds_read_b32 v62, v21                                       // 00000000A118: D86C0000 3E000015
	ds_read_b32 v63, v21 offset:64                             // 00000000A120: D86C0040 3F000015
	ds_read_b32 v66, v21 offset:2176                           // 00000000A128: D86C0880 42000015
	ds_read_b32 v67, v21 offset:2240                           // 00000000A130: D86C08C0 43000015
	ds_read_b32 v70, v21 offset:4352                           // 00000000A138: D86C1100 46000015
	ds_read_b32 v71, v21 offset:4416                           // 00000000A140: D86C1140 47000015
	ds_read_b32 v74, v21 offset:6528                           // 00000000A148: D86C1980 4A000015
	ds_read_b32 v75, v21 offset:6592                           // 00000000A150: D86C19C0 4B000015
	ds_read_b32 v78, v21 offset:8704                           // 00000000A158: D86C2200 4E000015
	ds_read_b32 v79, v21 offset:8768                           // 00000000A160: D86C2240 4F000015
	ds_read_b32 v82, v21 offset:10880                          // 00000000A168: D86C2A80 52000015
	ds_read_b32 v83, v21 offset:10944                          // 00000000A170: D86C2AC0 53000015
	ds_read_b32 v86, v21 offset:13056                          // 00000000A178: D86C3300 56000015
	ds_read_b32 v87, v21 offset:13120                          // 00000000A180: D86C3340 57000015
	ds_read_b32 v90, v21 offset:15232                          // 00000000A188: D86C3B80 5A000015
	ds_read_b32 v91, v21 offset:15296                          // 00000000A190: D86C3BC0 5B000015
	ds_read_b32 v94, v21 offset:17408                          // 00000000A198: D86C4400 5E000015
	ds_read_b32 v95, v21 offset:17472                          // 00000000A1A0: D86C4440 5F000015
	ds_read_b32 v98, v21 offset:19584                          // 00000000A1A8: D86C4C80 62000015
	ds_read_b32 v99, v21 offset:19648                          // 00000000A1B0: D86C4CC0 63000015
	ds_read_b32 v102, v21 offset:21760                         // 00000000A1B8: D86C5500 66000015
	ds_read_b32 v103, v21 offset:21824                         // 00000000A1C0: D86C5540 67000015
	ds_read_b32 v106, v21 offset:23936                         // 00000000A1C8: D86C5D80 6A000015
	ds_read_b32 v107, v21 offset:24000                         // 00000000A1D0: D86C5DC0 6B000015
	ds_read_b32 v110, v21 offset:26112                         // 00000000A1D8: D86C6600 6E000015
	ds_read_b32 v111, v21 offset:26176                         // 00000000A1E0: D86C6640 6F000015
	ds_read_b32 v114, v21 offset:28288                         // 00000000A1E8: D86C6E80 72000015
	ds_read_b32 v115, v21 offset:28352                         // 00000000A1F0: D86C6EC0 73000015
	ds_read_b32 v118, v21 offset:30464                         // 00000000A1F8: D86C7700 76000015
	ds_read_b32 v119, v21 offset:30528                         // 00000000A200: D86C7740 77000015
	ds_read_b32 v122, v21 offset:32640                         // 00000000A208: D86C7F80 7A000015
	ds_read_b32 v123, v21 offset:32704                         // 00000000A210: D86C7FC0 7B000015
	s_waitcnt lgkmcnt(0)                                       // 00000000A218: BF8CC07F
	v_mov_b32_e32 v7, 0                                        // 00000000A21C: 7E0E0280
	s_mov_b64 exec, s[36:37]                                   // 00000000A220: BEFE0124
	v_mov_b32_e32 v6, v46                                      // 00000000A224: 7E0C032E
	s_mov_b64 s[60:61], 0                                      // 00000000A228: BEBC0180
	v_readlane_b32 s82, v3, 0                                  // 00000000A22C: D2890052 00010103
	s_and_b32 s82, s82, 0xffffff                               // 00000000A234: 8652FF52 00FFFFFF
	s_cmp_lt_u32 s82, s66                                      // 00000000A23C: BF0A4252
	s_cselect_b32 s20, s36, s60                                // 00000000A240: 85143C24
	v_readlane_b32 s82, v3, 1                                  // 00000000A244: D2890052 00010303
	s_and_b32 s82, s82, 0xffffff                               // 00000000A24C: 8652FF52 00FFFFFF
	s_cmp_lt_u32 s82, s66                                      // 00000000A254: BF0A4252
	s_cselect_b32 s21, s36, s60                                // 00000000A258: 85153C24
	s_mov_b64 exec, s[20:21]                                   // 00000000A25C: BEFE0114
	global_atomic_add_f32 v6, v62, s[8:9] offset:8             // 00000000A260: DD348008 00083E06
	global_atomic_add_f32 v6, v66, s[8:9] offset:264           // 00000000A268: DD348108 00084206
	global_atomic_add_f32 v6, v70, s[8:9] offset:520           // 00000000A270: DD348208 00084606
	global_atomic_add_f32 v6, v74, s[8:9] offset:776           // 00000000A278: DD348308 00084A06
	s_mov_b64 exec, s[36:37]                                   // 00000000A280: BEFE0124
	v_mov_b32_e32 v6, v47                                      // 00000000A284: 7E0C032F
	s_mov_b64 s[60:61], 0                                      // 00000000A288: BEBC0180
	v_readlane_b32 s82, v3, 2                                  // 00000000A28C: D2890052 00010503
	s_and_b32 s82, s82, 0xffffff                               // 00000000A294: 8652FF52 00FFFFFF
	s_cmp_lt_u32 s82, s66                                      // 00000000A29C: BF0A4252
	s_cselect_b32 s20, s36, s60                                // 00000000A2A0: 85143C24
	v_readlane_b32 s82, v3, 3                                  // 00000000A2A4: D2890052 00010703
	s_and_b32 s82, s82, 0xffffff                               // 00000000A2AC: 8652FF52 00FFFFFF
	s_cmp_lt_u32 s82, s66                                      // 00000000A2B4: BF0A4252
	s_cselect_b32 s21, s36, s60                                // 00000000A2B8: 85153C24
	s_mov_b64 exec, s[20:21]                                   // 00000000A2BC: BEFE0114
	global_atomic_add_f32 v6, v63, s[8:9] offset:8             // 00000000A2C0: DD348008 00083F06
	global_atomic_add_f32 v6, v67, s[8:9] offset:264           // 00000000A2C8: DD348108 00084306
	global_atomic_add_f32 v6, v71, s[8:9] offset:520           // 00000000A2D0: DD348208 00084706
	global_atomic_add_f32 v6, v75, s[8:9] offset:776           // 00000000A2D8: DD348308 00084B06
	s_mov_b64 exec, s[36:37]                                   // 00000000A2E0: BEFE0124
	v_mov_b32_e32 v6, v48                                      // 00000000A2E4: 7E0C0330
	s_mov_b64 s[60:61], 0                                      // 00000000A2E8: BEBC0180
	v_readlane_b32 s82, v3, 4                                  // 00000000A2EC: D2890052 00010903
	s_and_b32 s82, s82, 0xffffff                               // 00000000A2F4: 8652FF52 00FFFFFF
	s_cmp_lt_u32 s82, s66                                      // 00000000A2FC: BF0A4252
	s_cselect_b32 s20, s36, s60                                // 00000000A300: 85143C24
	v_readlane_b32 s82, v3, 5                                  // 00000000A304: D2890052 00010B03
	s_and_b32 s82, s82, 0xffffff                               // 00000000A30C: 8652FF52 00FFFFFF
	s_cmp_lt_u32 s82, s66                                      // 00000000A314: BF0A4252
	s_cselect_b32 s21, s36, s60                                // 00000000A318: 85153C24
	s_mov_b64 exec, s[20:21]                                   // 00000000A31C: BEFE0114
	global_atomic_add_f32 v6, v78, s[8:9] offset:8             // 00000000A320: DD348008 00084E06
	global_atomic_add_f32 v6, v82, s[8:9] offset:264           // 00000000A328: DD348108 00085206
	global_atomic_add_f32 v6, v86, s[8:9] offset:520           // 00000000A330: DD348208 00085606
	global_atomic_add_f32 v6, v90, s[8:9] offset:776           // 00000000A338: DD348308 00085A06
	s_mov_b64 exec, s[36:37]                                   // 00000000A340: BEFE0124
	v_mov_b32_e32 v6, v49                                      // 00000000A344: 7E0C0331
	s_mov_b64 s[60:61], 0                                      // 00000000A348: BEBC0180
	v_readlane_b32 s82, v3, 6                                  // 00000000A34C: D2890052 00010D03
	s_and_b32 s82, s82, 0xffffff                               // 00000000A354: 8652FF52 00FFFFFF
	s_cmp_lt_u32 s82, s66                                      // 00000000A35C: BF0A4252
	s_cselect_b32 s20, s36, s60                                // 00000000A360: 85143C24
	v_readlane_b32 s82, v3, 7                                  // 00000000A364: D2890052 00010F03
	s_and_b32 s82, s82, 0xffffff                               // 00000000A36C: 8652FF52 00FFFFFF
	s_cmp_lt_u32 s82, s66                                      // 00000000A374: BF0A4252
	s_cselect_b32 s21, s36, s60                                // 00000000A378: 85153C24
	s_mov_b64 exec, s[20:21]                                   // 00000000A37C: BEFE0114
	global_atomic_add_f32 v6, v79, s[8:9] offset:8             // 00000000A380: DD348008 00084F06
	global_atomic_add_f32 v6, v83, s[8:9] offset:264           // 00000000A388: DD348108 00085306
	global_atomic_add_f32 v6, v87, s[8:9] offset:520           // 00000000A390: DD348208 00085706
	global_atomic_add_f32 v6, v91, s[8:9] offset:776           // 00000000A398: DD348308 00085B06
	s_mov_b64 exec, s[36:37]                                   // 00000000A3A0: BEFE0124
	v_mov_b32_e32 v6, v50                                      // 00000000A3A4: 7E0C0332
	s_mov_b64 s[60:61], 0                                      // 00000000A3A8: BEBC0180
	v_readlane_b32 s82, v3, 8                                  // 00000000A3AC: D2890052 00011103
	s_and_b32 s82, s82, 0xffffff                               // 00000000A3B4: 8652FF52 00FFFFFF
	s_cmp_lt_u32 s82, s66                                      // 00000000A3BC: BF0A4252
	s_cselect_b32 s20, s36, s60                                // 00000000A3C0: 85143C24
	v_readlane_b32 s82, v3, 9                                  // 00000000A3C4: D2890052 00011303
	s_and_b32 s82, s82, 0xffffff                               // 00000000A3CC: 8652FF52 00FFFFFF
	s_cmp_lt_u32 s82, s66                                      // 00000000A3D4: BF0A4252
	s_cselect_b32 s21, s36, s60                                // 00000000A3D8: 85153C24
	s_mov_b64 exec, s[20:21]                                   // 00000000A3DC: BEFE0114
	global_atomic_add_f32 v6, v94, s[8:9] offset:8             // 00000000A3E0: DD348008 00085E06
	global_atomic_add_f32 v6, v98, s[8:9] offset:264           // 00000000A3E8: DD348108 00086206
	global_atomic_add_f32 v6, v102, s[8:9] offset:520          // 00000000A3F0: DD348208 00086606
	global_atomic_add_f32 v6, v106, s[8:9] offset:776          // 00000000A3F8: DD348308 00086A06
	s_mov_b64 exec, s[36:37]                                   // 00000000A400: BEFE0124
	v_mov_b32_e32 v6, v51                                      // 00000000A404: 7E0C0333
	s_mov_b64 s[60:61], 0                                      // 00000000A408: BEBC0180
	v_readlane_b32 s82, v3, 10                                 // 00000000A40C: D2890052 00011503
	s_and_b32 s82, s82, 0xffffff                               // 00000000A414: 8652FF52 00FFFFFF
	s_cmp_lt_u32 s82, s66                                      // 00000000A41C: BF0A4252
	s_cselect_b32 s20, s36, s60                                // 00000000A420: 85143C24
	v_readlane_b32 s82, v3, 11                                 // 00000000A424: D2890052 00011703
	s_and_b32 s82, s82, 0xffffff                               // 00000000A42C: 8652FF52 00FFFFFF
	s_cmp_lt_u32 s82, s66                                      // 00000000A434: BF0A4252
	s_cselect_b32 s21, s36, s60                                // 00000000A438: 85153C24
	s_mov_b64 exec, s[20:21]                                   // 00000000A43C: BEFE0114
	global_atomic_add_f32 v6, v95, s[8:9] offset:8             // 00000000A440: DD348008 00085F06
	global_atomic_add_f32 v6, v99, s[8:9] offset:264           // 00000000A448: DD348108 00086306
	global_atomic_add_f32 v6, v103, s[8:9] offset:520          // 00000000A450: DD348208 00086706
	global_atomic_add_f32 v6, v107, s[8:9] offset:776          // 00000000A458: DD348308 00086B06
	s_mov_b64 exec, s[36:37]                                   // 00000000A460: BEFE0124
	v_mov_b32_e32 v6, v52                                      // 00000000A464: 7E0C0334
	s_mov_b64 s[60:61], 0                                      // 00000000A468: BEBC0180
	v_readlane_b32 s82, v3, 12                                 // 00000000A46C: D2890052 00011903
	s_and_b32 s82, s82, 0xffffff                               // 00000000A474: 8652FF52 00FFFFFF
	s_cmp_lt_u32 s82, s66                                      // 00000000A47C: BF0A4252
	s_cselect_b32 s20, s36, s60                                // 00000000A480: 85143C24
	v_readlane_b32 s82, v3, 13                                 // 00000000A484: D2890052 00011B03
	s_and_b32 s82, s82, 0xffffff                               // 00000000A48C: 8652FF52 00FFFFFF
	s_cmp_lt_u32 s82, s66                                      // 00000000A494: BF0A4252
	s_cselect_b32 s21, s36, s60                                // 00000000A498: 85153C24
	s_mov_b64 exec, s[20:21]                                   // 00000000A49C: BEFE0114
	global_atomic_add_f32 v6, v110, s[8:9] offset:8            // 00000000A4A0: DD348008 00086E06
	global_atomic_add_f32 v6, v114, s[8:9] offset:264          // 00000000A4A8: DD348108 00087206
	global_atomic_add_f32 v6, v118, s[8:9] offset:520          // 00000000A4B0: DD348208 00087606
	global_atomic_add_f32 v6, v122, s[8:9] offset:776          // 00000000A4B8: DD348308 00087A06
	s_mov_b64 exec, s[36:37]                                   // 00000000A4C0: BEFE0124
	v_mov_b32_e32 v6, v53                                      // 00000000A4C4: 7E0C0335
	s_mov_b64 s[60:61], 0                                      // 00000000A4C8: BEBC0180
	v_readlane_b32 s82, v3, 14                                 // 00000000A4CC: D2890052 00011D03
	s_and_b32 s82, s82, 0xffffff                               // 00000000A4D4: 8652FF52 00FFFFFF
	s_cmp_lt_u32 s82, s66                                      // 00000000A4DC: BF0A4252
	s_cselect_b32 s20, s36, s60                                // 00000000A4E0: 85143C24
	v_readlane_b32 s82, v3, 15                                 // 00000000A4E4: D2890052 00011F03
	s_and_b32 s82, s82, 0xffffff                               // 00000000A4EC: 8652FF52 00FFFFFF
	s_cmp_lt_u32 s82, s66                                      // 00000000A4F4: BF0A4252
	s_cselect_b32 s21, s36, s60                                // 00000000A4F8: 85153C24
	s_mov_b64 exec, s[20:21]                                   // 00000000A4FC: BEFE0114
	global_atomic_add_f32 v6, v111, s[8:9] offset:8            // 00000000A500: DD348008 00086F06
	global_atomic_add_f32 v6, v115, s[8:9] offset:264          // 00000000A508: DD348108 00087306
	global_atomic_add_f32 v6, v119, s[8:9] offset:520          // 00000000A510: DD348208 00087706
	global_atomic_add_f32 v6, v123, s[8:9] offset:776          // 00000000A518: DD348308 00087B06
	s_mov_b64 exec, s[36:37]                                   // 00000000A520: BEFE0124
	ds_write_b64 v20, v[124:125]                               // 00000000A524: D89A0000 00007C14
	ds_write_b64 v20, v[128:129] offset:8704                   // 00000000A52C: D89A2200 00008014
	ds_write_b64 v20, v[132:133] offset:17408                  // 00000000A534: D89A4400 00008414
	ds_write_b64 v20, v[136:137] offset:26112                  // 00000000A53C: D89A6600 00008814
	ds_write_b64 v20, v[140:141] offset:2176                   // 00000000A544: D89A0880 00008C14
	ds_write_b64 v20, v[144:145] offset:10880                  // 00000000A54C: D89A2A80 00009014
	ds_write_b64 v20, v[148:149] offset:19584                  // 00000000A554: D89A4C80 00009414
	ds_write_b64 v20, v[152:153] offset:28288                  // 00000000A55C: D89A6E80 00009814
	ds_write_b64 v20, v[156:157] offset:4352                   // 00000000A564: D89A1100 00009C14
	ds_write_b64 v20, v[160:161] offset:13056                  // 00000000A56C: D89A3300 0000A014
	ds_write_b64 v20, v[164:165] offset:21760                  // 00000000A574: D89A5500 0000A414
	ds_write_b64 v20, v[168:169] offset:30464                  // 00000000A57C: D89A7700 0000A814
	ds_write_b64 v20, v[172:173] offset:6528                   // 00000000A584: D89A1980 0000AC14
	ds_write_b64 v20, v[176:177] offset:15232                  // 00000000A58C: D89A3B80 0000B014
	ds_write_b64 v20, v[180:181] offset:23936                  // 00000000A594: D89A5D80 0000B414
	ds_write_b64 v20, v[184:185] offset:32640                  // 00000000A59C: D89A7F80 0000B814
	s_waitcnt lgkmcnt(0)                                       // 00000000A5A4: BF8CC07F
	s_barrier                                                  // 00000000A5A8: BF8A0000
	ds_read_b32 v124, v21                                      // 00000000A5AC: D86C0000 7C000015
	ds_read_b32 v125, v21 offset:64                            // 00000000A5B4: D86C0040 7D000015
	ds_read_b32 v128, v21 offset:2176                          // 00000000A5BC: D86C0880 80000015
	ds_read_b32 v129, v21 offset:2240                          // 00000000A5C4: D86C08C0 81000015
	ds_read_b32 v132, v21 offset:4352                          // 00000000A5CC: D86C1100 84000015
	ds_read_b32 v133, v21 offset:4416                          // 00000000A5D4: D86C1140 85000015
	ds_read_b32 v136, v21 offset:6528                          // 00000000A5DC: D86C1980 88000015
	ds_read_b32 v137, v21 offset:6592                          // 00000000A5E4: D86C19C0 89000015
	ds_read_b32 v140, v21 offset:8704                          // 00000000A5EC: D86C2200 8C000015
	ds_read_b32 v141, v21 offset:8768                          // 00000000A5F4: D86C2240 8D000015
	ds_read_b32 v144, v21 offset:10880                         // 00000000A5FC: D86C2A80 90000015
	ds_read_b32 v145, v21 offset:10944                         // 00000000A604: D86C2AC0 91000015
	ds_read_b32 v148, v21 offset:13056                         // 00000000A60C: D86C3300 94000015
	ds_read_b32 v149, v21 offset:13120                         // 00000000A614: D86C3340 95000015
	ds_read_b32 v152, v21 offset:15232                         // 00000000A61C: D86C3B80 98000015
	ds_read_b32 v153, v21 offset:15296                         // 00000000A624: D86C3BC0 99000015
	ds_read_b32 v156, v21 offset:17408                         // 00000000A62C: D86C4400 9C000015
	ds_read_b32 v157, v21 offset:17472                         // 00000000A634: D86C4440 9D000015
	ds_read_b32 v160, v21 offset:19584                         // 00000000A63C: D86C4C80 A0000015
	ds_read_b32 v161, v21 offset:19648                         // 00000000A644: D86C4CC0 A1000015
	ds_read_b32 v164, v21 offset:21760                         // 00000000A64C: D86C5500 A4000015
	ds_read_b32 v165, v21 offset:21824                         // 00000000A654: D86C5540 A5000015
	ds_read_b32 v168, v21 offset:23936                         // 00000000A65C: D86C5D80 A8000015
	ds_read_b32 v169, v21 offset:24000                         // 00000000A664: D86C5DC0 A9000015
	ds_read_b32 v172, v21 offset:26112                         // 00000000A66C: D86C6600 AC000015
	ds_read_b32 v173, v21 offset:26176                         // 00000000A674: D86C6640 AD000015
	ds_read_b32 v176, v21 offset:28288                         // 00000000A67C: D86C6E80 B0000015
	ds_read_b32 v177, v21 offset:28352                         // 00000000A684: D86C6EC0 B1000015
	ds_read_b32 v180, v21 offset:30464                         // 00000000A68C: D86C7700 B4000015
	ds_read_b32 v181, v21 offset:30528                         // 00000000A694: D86C7740 B5000015
	ds_read_b32 v184, v21 offset:32640                         // 00000000A69C: D86C7F80 B8000015
	ds_read_b32 v185, v21 offset:32704                         // 00000000A6A4: D86C7FC0 B9000015
	s_mul_i32 s60, s65, 4                                      // 00000000A6AC: 923C8441
	s_add_u32 s8, s60, s8                                      // 00000000A6B0: 8008083C
	s_addc_u32 s9, 0, s9                                       // 00000000A6B4: 82090980
	s_waitcnt lgkmcnt(0)                                       // 00000000A6B8: BF8CC07F
	v_mov_b32_e32 v7, 0                                        // 00000000A6BC: 7E0E0280
	s_mov_b64 exec, s[36:37]                                   // 00000000A6C0: BEFE0124
	v_mov_b32_e32 v6, v46                                      // 00000000A6C4: 7E0C032E
	s_mov_b64 s[60:61], 0                                      // 00000000A6C8: BEBC0180
	v_readlane_b32 s82, v3, 0                                  // 00000000A6CC: D2890052 00010103
	s_and_b32 s82, s82, 0xffffff                               // 00000000A6D4: 8652FF52 00FFFFFF
	s_cmp_lt_u32 s82, s66                                      // 00000000A6DC: BF0A4252
	s_cselect_b32 s20, s36, s60                                // 00000000A6E0: 85143C24
	v_readlane_b32 s82, v3, 1                                  // 00000000A6E4: D2890052 00010303
	s_and_b32 s82, s82, 0xffffff                               // 00000000A6EC: 8652FF52 00FFFFFF
	s_cmp_lt_u32 s82, s66                                      // 00000000A6F4: BF0A4252
	s_cselect_b32 s21, s36, s60                                // 00000000A6F8: 85153C24
	s_mov_b64 exec, s[20:21]                                   // 00000000A6FC: BEFE0114
	global_atomic_add_f32 v6, v124, s[8:9]                     // 00000000A700: DD348000 00087C06
	global_atomic_add_f32 v6, v128, s[8:9] offset:256          // 00000000A708: DD348100 00088006
	global_atomic_add_f32 v6, v132, s[8:9] offset:512          // 00000000A710: DD348200 00088406
	global_atomic_add_f32 v6, v136, s[8:9] offset:768          // 00000000A718: DD348300 00088806
	s_mov_b64 exec, s[36:37]                                   // 00000000A720: BEFE0124
	v_mov_b32_e32 v6, v47                                      // 00000000A724: 7E0C032F
	s_mov_b64 s[60:61], 0                                      // 00000000A728: BEBC0180
	v_readlane_b32 s82, v3, 2                                  // 00000000A72C: D2890052 00010503
	s_and_b32 s82, s82, 0xffffff                               // 00000000A734: 8652FF52 00FFFFFF
	s_cmp_lt_u32 s82, s66                                      // 00000000A73C: BF0A4252
	s_cselect_b32 s20, s36, s60                                // 00000000A740: 85143C24
	v_readlane_b32 s82, v3, 3                                  // 00000000A744: D2890052 00010703
	s_and_b32 s82, s82, 0xffffff                               // 00000000A74C: 8652FF52 00FFFFFF
	s_cmp_lt_u32 s82, s66                                      // 00000000A754: BF0A4252
	s_cselect_b32 s21, s36, s60                                // 00000000A758: 85153C24
	s_mov_b64 exec, s[20:21]                                   // 00000000A75C: BEFE0114
	global_atomic_add_f32 v6, v125, s[8:9]                     // 00000000A760: DD348000 00087D06
	global_atomic_add_f32 v6, v129, s[8:9] offset:256          // 00000000A768: DD348100 00088106
	global_atomic_add_f32 v6, v133, s[8:9] offset:512          // 00000000A770: DD348200 00088506
	global_atomic_add_f32 v6, v137, s[8:9] offset:768          // 00000000A778: DD348300 00088906
	s_mov_b64 exec, s[36:37]                                   // 00000000A780: BEFE0124
	v_mov_b32_e32 v6, v48                                      // 00000000A784: 7E0C0330
	s_mov_b64 s[60:61], 0                                      // 00000000A788: BEBC0180
	v_readlane_b32 s82, v3, 4                                  // 00000000A78C: D2890052 00010903
	s_and_b32 s82, s82, 0xffffff                               // 00000000A794: 8652FF52 00FFFFFF
	s_cmp_lt_u32 s82, s66                                      // 00000000A79C: BF0A4252
	s_cselect_b32 s20, s36, s60                                // 00000000A7A0: 85143C24
	v_readlane_b32 s82, v3, 5                                  // 00000000A7A4: D2890052 00010B03
	s_and_b32 s82, s82, 0xffffff                               // 00000000A7AC: 8652FF52 00FFFFFF
	s_cmp_lt_u32 s82, s66                                      // 00000000A7B4: BF0A4252
	s_cselect_b32 s21, s36, s60                                // 00000000A7B8: 85153C24
	s_mov_b64 exec, s[20:21]                                   // 00000000A7BC: BEFE0114
	global_atomic_add_f32 v6, v140, s[8:9]                     // 00000000A7C0: DD348000 00088C06
	global_atomic_add_f32 v6, v144, s[8:9] offset:256          // 00000000A7C8: DD348100 00089006
	global_atomic_add_f32 v6, v148, s[8:9] offset:512          // 00000000A7D0: DD348200 00089406
	global_atomic_add_f32 v6, v152, s[8:9] offset:768          // 00000000A7D8: DD348300 00089806
	s_mov_b64 exec, s[36:37]                                   // 00000000A7E0: BEFE0124
	v_mov_b32_e32 v6, v49                                      // 00000000A7E4: 7E0C0331
	s_mov_b64 s[60:61], 0                                      // 00000000A7E8: BEBC0180
	v_readlane_b32 s82, v3, 6                                  // 00000000A7EC: D2890052 00010D03
	s_and_b32 s82, s82, 0xffffff                               // 00000000A7F4: 8652FF52 00FFFFFF
	s_cmp_lt_u32 s82, s66                                      // 00000000A7FC: BF0A4252
	s_cselect_b32 s20, s36, s60                                // 00000000A800: 85143C24
	v_readlane_b32 s82, v3, 7                                  // 00000000A804: D2890052 00010F03
	s_and_b32 s82, s82, 0xffffff                               // 00000000A80C: 8652FF52 00FFFFFF
	s_cmp_lt_u32 s82, s66                                      // 00000000A814: BF0A4252
	s_cselect_b32 s21, s36, s60                                // 00000000A818: 85153C24
	s_mov_b64 exec, s[20:21]                                   // 00000000A81C: BEFE0114
	global_atomic_add_f32 v6, v141, s[8:9]                     // 00000000A820: DD348000 00088D06
	global_atomic_add_f32 v6, v145, s[8:9] offset:256          // 00000000A828: DD348100 00089106
	global_atomic_add_f32 v6, v149, s[8:9] offset:512          // 00000000A830: DD348200 00089506
	global_atomic_add_f32 v6, v153, s[8:9] offset:768          // 00000000A838: DD348300 00089906
	s_mov_b64 exec, s[36:37]                                   // 00000000A840: BEFE0124
	v_mov_b32_e32 v6, v50                                      // 00000000A844: 7E0C0332
	s_mov_b64 s[60:61], 0                                      // 00000000A848: BEBC0180
	v_readlane_b32 s82, v3, 8                                  // 00000000A84C: D2890052 00011103
	s_and_b32 s82, s82, 0xffffff                               // 00000000A854: 8652FF52 00FFFFFF
	s_cmp_lt_u32 s82, s66                                      // 00000000A85C: BF0A4252
	s_cselect_b32 s20, s36, s60                                // 00000000A860: 85143C24
	v_readlane_b32 s82, v3, 9                                  // 00000000A864: D2890052 00011303
	s_and_b32 s82, s82, 0xffffff                               // 00000000A86C: 8652FF52 00FFFFFF
	s_cmp_lt_u32 s82, s66                                      // 00000000A874: BF0A4252
	s_cselect_b32 s21, s36, s60                                // 00000000A878: 85153C24
	s_mov_b64 exec, s[20:21]                                   // 00000000A87C: BEFE0114
	global_atomic_add_f32 v6, v156, s[8:9]                     // 00000000A880: DD348000 00089C06
	global_atomic_add_f32 v6, v160, s[8:9] offset:256          // 00000000A888: DD348100 0008A006
	global_atomic_add_f32 v6, v164, s[8:9] offset:512          // 00000000A890: DD348200 0008A406
	global_atomic_add_f32 v6, v168, s[8:9] offset:768          // 00000000A898: DD348300 0008A806
	s_mov_b64 exec, s[36:37]                                   // 00000000A8A0: BEFE0124
	v_mov_b32_e32 v6, v51                                      // 00000000A8A4: 7E0C0333
	s_mov_b64 s[60:61], 0                                      // 00000000A8A8: BEBC0180
	v_readlane_b32 s82, v3, 10                                 // 00000000A8AC: D2890052 00011503
	s_and_b32 s82, s82, 0xffffff                               // 00000000A8B4: 8652FF52 00FFFFFF
	s_cmp_lt_u32 s82, s66                                      // 00000000A8BC: BF0A4252
	s_cselect_b32 s20, s36, s60                                // 00000000A8C0: 85143C24
	v_readlane_b32 s82, v3, 11                                 // 00000000A8C4: D2890052 00011703
	s_and_b32 s82, s82, 0xffffff                               // 00000000A8CC: 8652FF52 00FFFFFF
	s_cmp_lt_u32 s82, s66                                      // 00000000A8D4: BF0A4252
	s_cselect_b32 s21, s36, s60                                // 00000000A8D8: 85153C24
	s_mov_b64 exec, s[20:21]                                   // 00000000A8DC: BEFE0114
	global_atomic_add_f32 v6, v157, s[8:9]                     // 00000000A8E0: DD348000 00089D06
	global_atomic_add_f32 v6, v161, s[8:9] offset:256          // 00000000A8E8: DD348100 0008A106
	global_atomic_add_f32 v6, v165, s[8:9] offset:512          // 00000000A8F0: DD348200 0008A506
	global_atomic_add_f32 v6, v169, s[8:9] offset:768          // 00000000A8F8: DD348300 0008A906
	s_mov_b64 exec, s[36:37]                                   // 00000000A900: BEFE0124
	v_mov_b32_e32 v6, v52                                      // 00000000A904: 7E0C0334
	s_mov_b64 s[60:61], 0                                      // 00000000A908: BEBC0180
	v_readlane_b32 s82, v3, 12                                 // 00000000A90C: D2890052 00011903
	s_and_b32 s82, s82, 0xffffff                               // 00000000A914: 8652FF52 00FFFFFF
	s_cmp_lt_u32 s82, s66                                      // 00000000A91C: BF0A4252
	s_cselect_b32 s20, s36, s60                                // 00000000A920: 85143C24
	v_readlane_b32 s82, v3, 13                                 // 00000000A924: D2890052 00011B03
	s_and_b32 s82, s82, 0xffffff                               // 00000000A92C: 8652FF52 00FFFFFF
	s_cmp_lt_u32 s82, s66                                      // 00000000A934: BF0A4252
	s_cselect_b32 s21, s36, s60                                // 00000000A938: 85153C24
	s_mov_b64 exec, s[20:21]                                   // 00000000A93C: BEFE0114
	global_atomic_add_f32 v6, v172, s[8:9]                     // 00000000A940: DD348000 0008AC06
	global_atomic_add_f32 v6, v176, s[8:9] offset:256          // 00000000A948: DD348100 0008B006
	global_atomic_add_f32 v6, v180, s[8:9] offset:512          // 00000000A950: DD348200 0008B406
	global_atomic_add_f32 v6, v184, s[8:9] offset:768          // 00000000A958: DD348300 0008B806
	s_mov_b64 exec, s[36:37]                                   // 00000000A960: BEFE0124
	v_mov_b32_e32 v6, v53                                      // 00000000A964: 7E0C0335
	s_mov_b64 s[60:61], 0                                      // 00000000A968: BEBC0180
	v_readlane_b32 s82, v3, 14                                 // 00000000A96C: D2890052 00011D03
	s_and_b32 s82, s82, 0xffffff                               // 00000000A974: 8652FF52 00FFFFFF
	s_cmp_lt_u32 s82, s66                                      // 00000000A97C: BF0A4252
	s_cselect_b32 s20, s36, s60                                // 00000000A980: 85143C24
	v_readlane_b32 s82, v3, 15                                 // 00000000A984: D2890052 00011F03
	s_and_b32 s82, s82, 0xffffff                               // 00000000A98C: 8652FF52 00FFFFFF
	s_cmp_lt_u32 s82, s66                                      // 00000000A994: BF0A4252
	s_cselect_b32 s21, s36, s60                                // 00000000A998: 85153C24
	s_mov_b64 exec, s[20:21]                                   // 00000000A99C: BEFE0114
	global_atomic_add_f32 v6, v173, s[8:9]                     // 00000000A9A0: DD348000 0008AD06
	global_atomic_add_f32 v6, v177, s[8:9] offset:256          // 00000000A9A8: DD348100 0008B106
	global_atomic_add_f32 v6, v181, s[8:9] offset:512          // 00000000A9B0: DD348200 0008B506
	global_atomic_add_f32 v6, v185, s[8:9] offset:768          // 00000000A9B8: DD348300 0008B906
	s_mov_b64 exec, s[36:37]                                   // 00000000A9C0: BEFE0124
	ds_write_b64 v20, v[126:127]                               // 00000000A9C4: D89A0000 00007E14
	ds_write_b64 v20, v[130:131] offset:8704                   // 00000000A9CC: D89A2200 00008214
	ds_write_b64 v20, v[134:135] offset:17408                  // 00000000A9D4: D89A4400 00008614
	ds_write_b64 v20, v[138:139] offset:26112                  // 00000000A9DC: D89A6600 00008A14
	ds_write_b64 v20, v[142:143] offset:2176                   // 00000000A9E4: D89A0880 00008E14
	ds_write_b64 v20, v[146:147] offset:10880                  // 00000000A9EC: D89A2A80 00009214
	ds_write_b64 v20, v[150:151] offset:19584                  // 00000000A9F4: D89A4C80 00009614
	ds_write_b64 v20, v[154:155] offset:28288                  // 00000000A9FC: D89A6E80 00009A14
	ds_write_b64 v20, v[158:159] offset:4352                   // 00000000AA04: D89A1100 00009E14
	ds_write_b64 v20, v[162:163] offset:13056                  // 00000000AA0C: D89A3300 0000A214
	ds_write_b64 v20, v[166:167] offset:21760                  // 00000000AA14: D89A5500 0000A614
	ds_write_b64 v20, v[170:171] offset:30464                  // 00000000AA1C: D89A7700 0000AA14
	ds_write_b64 v20, v[174:175] offset:6528                   // 00000000AA24: D89A1980 0000AE14
	ds_write_b64 v20, v[178:179] offset:15232                  // 00000000AA2C: D89A3B80 0000B214
	ds_write_b64 v20, v[182:183] offset:23936                  // 00000000AA34: D89A5D80 0000B614
	ds_write_b64 v20, v[186:187] offset:32640                  // 00000000AA3C: D89A7F80 0000BA14
	s_waitcnt lgkmcnt(0)                                       // 00000000AA44: BF8CC07F
	s_barrier                                                  // 00000000AA48: BF8A0000
	ds_read_b32 v126, v21                                      // 00000000AA4C: D86C0000 7E000015
	ds_read_b32 v127, v21 offset:64                            // 00000000AA54: D86C0040 7F000015
	ds_read_b32 v130, v21 offset:2176                          // 00000000AA5C: D86C0880 82000015
	ds_read_b32 v131, v21 offset:2240                          // 00000000AA64: D86C08C0 83000015
	ds_read_b32 v134, v21 offset:4352                          // 00000000AA6C: D86C1100 86000015
	ds_read_b32 v135, v21 offset:4416                          // 00000000AA74: D86C1140 87000015
	ds_read_b32 v138, v21 offset:6528                          // 00000000AA7C: D86C1980 8A000015
	ds_read_b32 v139, v21 offset:6592                          // 00000000AA84: D86C19C0 8B000015
	ds_read_b32 v142, v21 offset:8704                          // 00000000AA8C: D86C2200 8E000015
	ds_read_b32 v143, v21 offset:8768                          // 00000000AA94: D86C2240 8F000015
	ds_read_b32 v146, v21 offset:10880                         // 00000000AA9C: D86C2A80 92000015
	ds_read_b32 v147, v21 offset:10944                         // 00000000AAA4: D86C2AC0 93000015
	ds_read_b32 v150, v21 offset:13056                         // 00000000AAAC: D86C3300 96000015
	ds_read_b32 v151, v21 offset:13120                         // 00000000AAB4: D86C3340 97000015
	ds_read_b32 v154, v21 offset:15232                         // 00000000AABC: D86C3B80 9A000015
	ds_read_b32 v155, v21 offset:15296                         // 00000000AAC4: D86C3BC0 9B000015
	ds_read_b32 v158, v21 offset:17408                         // 00000000AACC: D86C4400 9E000015
	ds_read_b32 v159, v21 offset:17472                         // 00000000AAD4: D86C4440 9F000015
	ds_read_b32 v162, v21 offset:19584                         // 00000000AADC: D86C4C80 A2000015
	ds_read_b32 v163, v21 offset:19648                         // 00000000AAE4: D86C4CC0 A3000015
	ds_read_b32 v166, v21 offset:21760                         // 00000000AAEC: D86C5500 A6000015
	ds_read_b32 v167, v21 offset:21824                         // 00000000AAF4: D86C5540 A7000015
	ds_read_b32 v170, v21 offset:23936                         // 00000000AAFC: D86C5D80 AA000015
	ds_read_b32 v171, v21 offset:24000                         // 00000000AB04: D86C5DC0 AB000015
	ds_read_b32 v174, v21 offset:26112                         // 00000000AB0C: D86C6600 AE000015
	ds_read_b32 v175, v21 offset:26176                         // 00000000AB14: D86C6640 AF000015
	ds_read_b32 v178, v21 offset:28288                         // 00000000AB1C: D86C6E80 B2000015
	ds_read_b32 v179, v21 offset:28352                         // 00000000AB24: D86C6EC0 B3000015
	ds_read_b32 v182, v21 offset:30464                         // 00000000AB2C: D86C7700 B6000015
	ds_read_b32 v183, v21 offset:30528                         // 00000000AB34: D86C7740 B7000015
	ds_read_b32 v186, v21 offset:32640                         // 00000000AB3C: D86C7F80 BA000015
	ds_read_b32 v187, v21 offset:32704                         // 00000000AB44: D86C7FC0 BB000015
	s_waitcnt lgkmcnt(0)                                       // 00000000AB4C: BF8CC07F
	v_mov_b32_e32 v7, 0                                        // 00000000AB50: 7E0E0280
	s_mov_b64 exec, s[36:37]                                   // 00000000AB54: BEFE0124
	v_mov_b32_e32 v6, v46                                      // 00000000AB58: 7E0C032E
	s_mov_b64 s[60:61], 0                                      // 00000000AB5C: BEBC0180
	v_readlane_b32 s82, v3, 0                                  // 00000000AB60: D2890052 00010103
	s_and_b32 s82, s82, 0xffffff                               // 00000000AB68: 8652FF52 00FFFFFF
	s_cmp_lt_u32 s82, s66                                      // 00000000AB70: BF0A4252
	s_cselect_b32 s20, s36, s60                                // 00000000AB74: 85143C24
	v_readlane_b32 s82, v3, 1                                  // 00000000AB78: D2890052 00010303
	s_and_b32 s82, s82, 0xffffff                               // 00000000AB80: 8652FF52 00FFFFFF
	s_cmp_lt_u32 s82, s66                                      // 00000000AB88: BF0A4252
	s_cselect_b32 s21, s36, s60                                // 00000000AB8C: 85153C24
	s_mov_b64 exec, s[20:21]                                   // 00000000AB90: BEFE0114
	global_atomic_add_f32 v6, v126, s[8:9] offset:8            // 00000000AB94: DD348008 00087E06
	global_atomic_add_f32 v6, v130, s[8:9] offset:264          // 00000000AB9C: DD348108 00088206
	global_atomic_add_f32 v6, v134, s[8:9] offset:520          // 00000000ABA4: DD348208 00088606
	global_atomic_add_f32 v6, v138, s[8:9] offset:776          // 00000000ABAC: DD348308 00088A06
	s_mov_b64 exec, s[36:37]                                   // 00000000ABB4: BEFE0124
	v_mov_b32_e32 v6, v47                                      // 00000000ABB8: 7E0C032F
	s_mov_b64 s[60:61], 0                                      // 00000000ABBC: BEBC0180
	v_readlane_b32 s82, v3, 2                                  // 00000000ABC0: D2890052 00010503
	s_and_b32 s82, s82, 0xffffff                               // 00000000ABC8: 8652FF52 00FFFFFF
	s_cmp_lt_u32 s82, s66                                      // 00000000ABD0: BF0A4252
	s_cselect_b32 s20, s36, s60                                // 00000000ABD4: 85143C24
	v_readlane_b32 s82, v3, 3                                  // 00000000ABD8: D2890052 00010703
	s_and_b32 s82, s82, 0xffffff                               // 00000000ABE0: 8652FF52 00FFFFFF
	s_cmp_lt_u32 s82, s66                                      // 00000000ABE8: BF0A4252
	s_cselect_b32 s21, s36, s60                                // 00000000ABEC: 85153C24
	s_mov_b64 exec, s[20:21]                                   // 00000000ABF0: BEFE0114
	global_atomic_add_f32 v6, v127, s[8:9] offset:8            // 00000000ABF4: DD348008 00087F06
	global_atomic_add_f32 v6, v131, s[8:9] offset:264          // 00000000ABFC: DD348108 00088306
	global_atomic_add_f32 v6, v135, s[8:9] offset:520          // 00000000AC04: DD348208 00088706
	global_atomic_add_f32 v6, v139, s[8:9] offset:776          // 00000000AC0C: DD348308 00088B06
	s_mov_b64 exec, s[36:37]                                   // 00000000AC14: BEFE0124
	v_mov_b32_e32 v6, v48                                      // 00000000AC18: 7E0C0330
	s_mov_b64 s[60:61], 0                                      // 00000000AC1C: BEBC0180
	v_readlane_b32 s82, v3, 4                                  // 00000000AC20: D2890052 00010903
	s_and_b32 s82, s82, 0xffffff                               // 00000000AC28: 8652FF52 00FFFFFF
	s_cmp_lt_u32 s82, s66                                      // 00000000AC30: BF0A4252
	s_cselect_b32 s20, s36, s60                                // 00000000AC34: 85143C24
	v_readlane_b32 s82, v3, 5                                  // 00000000AC38: D2890052 00010B03
	s_and_b32 s82, s82, 0xffffff                               // 00000000AC40: 8652FF52 00FFFFFF
	s_cmp_lt_u32 s82, s66                                      // 00000000AC48: BF0A4252
	s_cselect_b32 s21, s36, s60                                // 00000000AC4C: 85153C24
	s_mov_b64 exec, s[20:21]                                   // 00000000AC50: BEFE0114
	global_atomic_add_f32 v6, v142, s[8:9] offset:8            // 00000000AC54: DD348008 00088E06
	global_atomic_add_f32 v6, v146, s[8:9] offset:264          // 00000000AC5C: DD348108 00089206
	global_atomic_add_f32 v6, v150, s[8:9] offset:520          // 00000000AC64: DD348208 00089606
	global_atomic_add_f32 v6, v154, s[8:9] offset:776          // 00000000AC6C: DD348308 00089A06
	s_mov_b64 exec, s[36:37]                                   // 00000000AC74: BEFE0124
	v_mov_b32_e32 v6, v49                                      // 00000000AC78: 7E0C0331
	s_mov_b64 s[60:61], 0                                      // 00000000AC7C: BEBC0180
	v_readlane_b32 s82, v3, 6                                  // 00000000AC80: D2890052 00010D03
	s_and_b32 s82, s82, 0xffffff                               // 00000000AC88: 8652FF52 00FFFFFF
	s_cmp_lt_u32 s82, s66                                      // 00000000AC90: BF0A4252
	s_cselect_b32 s20, s36, s60                                // 00000000AC94: 85143C24
	v_readlane_b32 s82, v3, 7                                  // 00000000AC98: D2890052 00010F03
	s_and_b32 s82, s82, 0xffffff                               // 00000000ACA0: 8652FF52 00FFFFFF
	s_cmp_lt_u32 s82, s66                                      // 00000000ACA8: BF0A4252
	s_cselect_b32 s21, s36, s60                                // 00000000ACAC: 85153C24
	s_mov_b64 exec, s[20:21]                                   // 00000000ACB0: BEFE0114
	global_atomic_add_f32 v6, v143, s[8:9] offset:8            // 00000000ACB4: DD348008 00088F06
	global_atomic_add_f32 v6, v147, s[8:9] offset:264          // 00000000ACBC: DD348108 00089306
	global_atomic_add_f32 v6, v151, s[8:9] offset:520          // 00000000ACC4: DD348208 00089706
	global_atomic_add_f32 v6, v155, s[8:9] offset:776          // 00000000ACCC: DD348308 00089B06
	s_mov_b64 exec, s[36:37]                                   // 00000000ACD4: BEFE0124
	v_mov_b32_e32 v6, v50                                      // 00000000ACD8: 7E0C0332
	s_mov_b64 s[60:61], 0                                      // 00000000ACDC: BEBC0180
	v_readlane_b32 s82, v3, 8                                  // 00000000ACE0: D2890052 00011103
	s_and_b32 s82, s82, 0xffffff                               // 00000000ACE8: 8652FF52 00FFFFFF
	s_cmp_lt_u32 s82, s66                                      // 00000000ACF0: BF0A4252
	s_cselect_b32 s20, s36, s60                                // 00000000ACF4: 85143C24
	v_readlane_b32 s82, v3, 9                                  // 00000000ACF8: D2890052 00011303
	s_and_b32 s82, s82, 0xffffff                               // 00000000AD00: 8652FF52 00FFFFFF
	s_cmp_lt_u32 s82, s66                                      // 00000000AD08: BF0A4252
	s_cselect_b32 s21, s36, s60                                // 00000000AD0C: 85153C24
	s_mov_b64 exec, s[20:21]                                   // 00000000AD10: BEFE0114
	global_atomic_add_f32 v6, v158, s[8:9] offset:8            // 00000000AD14: DD348008 00089E06
	global_atomic_add_f32 v6, v162, s[8:9] offset:264          // 00000000AD1C: DD348108 0008A206
	global_atomic_add_f32 v6, v166, s[8:9] offset:520          // 00000000AD24: DD348208 0008A606
	global_atomic_add_f32 v6, v170, s[8:9] offset:776          // 00000000AD2C: DD348308 0008AA06
	s_mov_b64 exec, s[36:37]                                   // 00000000AD34: BEFE0124
	v_mov_b32_e32 v6, v51                                      // 00000000AD38: 7E0C0333
	s_mov_b64 s[60:61], 0                                      // 00000000AD3C: BEBC0180
	v_readlane_b32 s82, v3, 10                                 // 00000000AD40: D2890052 00011503
	s_and_b32 s82, s82, 0xffffff                               // 00000000AD48: 8652FF52 00FFFFFF
	s_cmp_lt_u32 s82, s66                                      // 00000000AD50: BF0A4252
	s_cselect_b32 s20, s36, s60                                // 00000000AD54: 85143C24
	v_readlane_b32 s82, v3, 11                                 // 00000000AD58: D2890052 00011703
	s_and_b32 s82, s82, 0xffffff                               // 00000000AD60: 8652FF52 00FFFFFF
	s_cmp_lt_u32 s82, s66                                      // 00000000AD68: BF0A4252
	s_cselect_b32 s21, s36, s60                                // 00000000AD6C: 85153C24
	s_mov_b64 exec, s[20:21]                                   // 00000000AD70: BEFE0114
	global_atomic_add_f32 v6, v159, s[8:9] offset:8            // 00000000AD74: DD348008 00089F06
	global_atomic_add_f32 v6, v163, s[8:9] offset:264          // 00000000AD7C: DD348108 0008A306
	global_atomic_add_f32 v6, v167, s[8:9] offset:520          // 00000000AD84: DD348208 0008A706
	global_atomic_add_f32 v6, v171, s[8:9] offset:776          // 00000000AD8C: DD348308 0008AB06
	s_mov_b64 exec, s[36:37]                                   // 00000000AD94: BEFE0124
	v_mov_b32_e32 v6, v52                                      // 00000000AD98: 7E0C0334
	s_mov_b64 s[60:61], 0                                      // 00000000AD9C: BEBC0180
	v_readlane_b32 s82, v3, 12                                 // 00000000ADA0: D2890052 00011903
	s_and_b32 s82, s82, 0xffffff                               // 00000000ADA8: 8652FF52 00FFFFFF
	s_cmp_lt_u32 s82, s66                                      // 00000000ADB0: BF0A4252
	s_cselect_b32 s20, s36, s60                                // 00000000ADB4: 85143C24
	v_readlane_b32 s82, v3, 13                                 // 00000000ADB8: D2890052 00011B03
	s_and_b32 s82, s82, 0xffffff                               // 00000000ADC0: 8652FF52 00FFFFFF
	s_cmp_lt_u32 s82, s66                                      // 00000000ADC8: BF0A4252
	s_cselect_b32 s21, s36, s60                                // 00000000ADCC: 85153C24
	s_mov_b64 exec, s[20:21]                                   // 00000000ADD0: BEFE0114
	global_atomic_add_f32 v6, v174, s[8:9] offset:8            // 00000000ADD4: DD348008 0008AE06
	global_atomic_add_f32 v6, v178, s[8:9] offset:264          // 00000000ADDC: DD348108 0008B206
	global_atomic_add_f32 v6, v182, s[8:9] offset:520          // 00000000ADE4: DD348208 0008B606
	global_atomic_add_f32 v6, v186, s[8:9] offset:776          // 00000000ADEC: DD348308 0008BA06
	s_mov_b64 exec, s[36:37]                                   // 00000000ADF4: BEFE0124
	v_mov_b32_e32 v6, v53                                      // 00000000ADF8: 7E0C0335
	s_mov_b64 s[60:61], 0                                      // 00000000ADFC: BEBC0180
	v_readlane_b32 s82, v3, 14                                 // 00000000AE00: D2890052 00011D03
	s_and_b32 s82, s82, 0xffffff                               // 00000000AE08: 8652FF52 00FFFFFF
	s_cmp_lt_u32 s82, s66                                      // 00000000AE10: BF0A4252
	s_cselect_b32 s20, s36, s60                                // 00000000AE14: 85143C24
	v_readlane_b32 s82, v3, 15                                 // 00000000AE18: D2890052 00011F03
	s_and_b32 s82, s82, 0xffffff                               // 00000000AE20: 8652FF52 00FFFFFF
	s_cmp_lt_u32 s82, s66                                      // 00000000AE28: BF0A4252
	s_cselect_b32 s21, s36, s60                                // 00000000AE2C: 85153C24
	s_mov_b64 exec, s[20:21]                                   // 00000000AE30: BEFE0114
	global_atomic_add_f32 v6, v175, s[8:9] offset:8            // 00000000AE34: DD348008 0008AF06
	global_atomic_add_f32 v6, v179, s[8:9] offset:264          // 00000000AE3C: DD348108 0008B306
	global_atomic_add_f32 v6, v183, s[8:9] offset:520          // 00000000AE44: DD348208 0008B706
	global_atomic_add_f32 v6, v187, s[8:9] offset:776          // 00000000AE4C: DD348308 0008BB06
	s_mov_b64 exec, s[36:37]                                   // 00000000AE54: BEFE0124
	s_branch label_3F60                                        // 00000000AE58: BF821E46

000000000000ae5c <label_211A>:
	s_waitcnt vmcnt(21) lgkmcnt(0)                             // 00000000AE5C: BF8C4075
	v_mul_f32_dpp v4, v24, v34 row_newbcast:0 row_mask:0xf bank_mask:0xf// 00000000AE60: 0A0844FA FF015018
	v_mfma_f32_16x16x32_fp8_fp8 v[8:11], a[64:65], a[0:1], 0   // 00000000AE68: D3F30008 1A020140
	buffer_load_dword v25, v22, s[32:35], 0 offen              // 00000000AE70: E0501000 80081916
	buffer_load_dwordx4 a[128:131], v54, s[24:27], 0 offen     // 00000000AE78: E05C1000 80868036
	v_mfma_f32_16x16x32_fp8_fp8 v[8:11], a[66:67], a[2:3], v[8:11]// 00000000AE80: D3F30008 1C220542
	v_mfma_f32_16x16x32_fp8_fp8 v[8:11], a[68:69], a[4:5], v[8:11]// 00000000AE88: D3F30008 1C220944
	v_mfma_f32_16x16x32_fp8_fp8 v[8:11], a[70:71], a[6:7], v[8:11]// 00000000AE90: D3F30008 1C220D46
	v_mfma_f32_16x16x32_fp8_fp8 v[12:15], a[72:73], a[0:1], 0  // 00000000AE98: D3F3000C 1A020148
	buffer_load_dwordx4 a[132:135], v54, s[24:27], 0 offen offset:1024// 00000000AEA0: E05C1400 80868436
	v_mfma_f32_16x16x32_fp8_fp8 v[12:15], a[74:75], a[2:3], v[12:15]// 00000000AEA8: D3F3000C 1C32054A
	v_mfma_f32_16x16x32_fp8_fp8 v[12:15], a[76:77], a[4:5], v[12:15]// 00000000AEB0: D3F3000C 1C32094C
	v_mfma_f32_16x16x32_fp8_fp8 v[12:15], a[78:79], a[6:7], v[12:15]// 00000000AEB8: D3F3000C 1C320D4E
	v_fma_f32 v60, v8, v4, v60                                 // 00000000AEC0: D1CB003C 04F20908
	v_fma_f32 v61, v9, v4, v61                                 // 00000000AEC8: D1CB003D 04F60909
	v_fma_f32 v62, v10, v4, v62                                // 00000000AED0: D1CB003E 04FA090A
	v_fma_f32 v63, v11, v4, v63                                // 00000000AED8: D1CB003F 04FE090B
	v_mul_f32_dpp v6, v24, v34 row_newbcast:1 row_mask:0xf bank_mask:0xf// 00000000AEE0: 0A0C44FA FF015118
	v_mfma_f32_16x16x32_fp8_fp8 v[8:11], a[80:81], a[0:1], 0   // 00000000AEE8: D3F30008 1A020150
	buffer_load_dwordx4 a[136:139], v55, s[24:27], 0 offen     // 00000000AEF0: E05C1000 80868837
	v_mfma_f32_16x16x32_fp8_fp8 v[8:11], a[82:83], a[2:3], v[8:11]// 00000000AEF8: D3F30008 1C220552
	v_mfma_f32_16x16x32_fp8_fp8 v[8:11], a[84:85], a[4:5], v[8:11]// 00000000AF00: D3F30008 1C220954
	v_mfma_f32_16x16x32_fp8_fp8 v[8:11], a[86:87], a[6:7], v[8:11]// 00000000AF08: D3F30008 1C220D56
	v_fma_f32 v76, v12, v4, v76                                // 00000000AF10: D1CB004C 0532090C
	v_fma_f32 v77, v13, v4, v77                                // 00000000AF18: D1CB004D 0536090D
	v_fma_f32 v78, v14, v4, v78                                // 00000000AF20: D1CB004E 053A090E
	v_fma_f32 v79, v15, v4, v79                                // 00000000AF28: D1CB004F 053E090F
	v_mfma_f32_16x16x32_fp8_fp8 v[12:15], a[88:89], a[0:1], 0  // 00000000AF30: D3F3000C 1A020158
	buffer_load_dwordx4 a[140:143], v55, s[24:27], 0 offen offset:1024// 00000000AF38: E05C1400 80868C37
	v_mfma_f32_16x16x32_fp8_fp8 v[12:15], a[90:91], a[2:3], v[12:15]// 00000000AF40: D3F3000C 1C32055A
	v_mfma_f32_16x16x32_fp8_fp8 v[12:15], a[92:93], a[4:5], v[12:15]// 00000000AF48: D3F3000C 1C32095C
	v_mfma_f32_16x16x32_fp8_fp8 v[12:15], a[94:95], a[6:7], v[12:15]// 00000000AF50: D3F3000C 1C320D5E
	v_fma_f32 v92, v8, v6, v92                                 // 00000000AF58: D1CB005C 05720D08
	v_fma_f32 v93, v9, v6, v93                                 // 00000000AF60: D1CB005D 05760D09
	v_fma_f32 v94, v10, v6, v94                                // 00000000AF68: D1CB005E 057A0D0A
	v_fma_f32 v95, v11, v6, v95                                // 00000000AF70: D1CB005F 057E0D0B
	v_mul_f32_dpp v4, v24, v35 row_newbcast:0 row_mask:0xf bank_mask:0xf// 00000000AF78: 0A0846FA FF015018
	v_mfma_f32_16x16x32_fp8_fp8 v[8:11], a[64:65], a[8:9], 0   // 00000000AF80: D3F30008 1A021140
	buffer_load_dwordx4 a[144:147], v56, s[24:27], 0 offen     // 00000000AF88: E05C1000 80869038
	v_mfma_f32_16x16x32_fp8_fp8 v[8:11], a[66:67], a[10:11], v[8:11]// 00000000AF90: D3F30008 1C221542
	v_mfma_f32_16x16x32_fp8_fp8 v[8:11], a[68:69], a[12:13], v[8:11]// 00000000AF98: D3F30008 1C221944
	v_mfma_f32_16x16x32_fp8_fp8 v[8:11], a[70:71], a[14:15], v[8:11]// 00000000AFA0: D3F30008 1C221D46
	v_fma_f32 v108, v12, v6, v108                              // 00000000AFA8: D1CB006C 05B20D0C
	v_fma_f32 v109, v13, v6, v109                              // 00000000AFB0: D1CB006D 05B60D0D
	v_fma_f32 v110, v14, v6, v110                              // 00000000AFB8: D1CB006E 05BA0D0E
	v_fma_f32 v111, v15, v6, v111                              // 00000000AFC0: D1CB006F 05BE0D0F
	v_mfma_f32_16x16x32_fp8_fp8 v[12:15], a[72:73], a[8:9], 0  // 00000000AFC8: D3F3000C 1A021148
	buffer_load_dwordx4 a[148:151], v56, s[24:27], 0 offen offset:1024// 00000000AFD0: E05C1400 80869438
	v_mfma_f32_16x16x32_fp8_fp8 v[12:15], a[74:75], a[10:11], v[12:15]// 00000000AFD8: D3F3000C 1C32154A
	v_mfma_f32_16x16x32_fp8_fp8 v[12:15], a[76:77], a[12:13], v[12:15]// 00000000AFE0: D3F3000C 1C32194C
	v_mfma_f32_16x16x32_fp8_fp8 v[12:15], a[78:79], a[14:15], v[12:15]// 00000000AFE8: D3F3000C 1C321D4E
	v_fma_f32 v64, v8, v4, v64                                 // 00000000AFF0: D1CB0040 05020908
	v_fma_f32 v65, v9, v4, v65                                 // 00000000AFF8: D1CB0041 05060909
	v_fma_f32 v66, v10, v4, v66                                // 00000000B000: D1CB0042 050A090A
	v_fma_f32 v67, v11, v4, v67                                // 00000000B008: D1CB0043 050E090B
	v_mul_f32_dpp v6, v24, v35 row_newbcast:1 row_mask:0xf bank_mask:0xf// 00000000B010: 0A0C46FA FF015118
	v_mfma_f32_16x16x32_fp8_fp8 v[8:11], a[80:81], a[8:9], 0   // 00000000B018: D3F30008 1A021150
	buffer_load_dwordx4 a[152:155], v57, s[24:27], 0 offen     // 00000000B020: E05C1000 80869839
	v_mfma_f32_16x16x32_fp8_fp8 v[8:11], a[82:83], a[10:11], v[8:11]// 00000000B028: D3F30008 1C221552
	v_mfma_f32_16x16x32_fp8_fp8 v[8:11], a[84:85], a[12:13], v[8:11]// 00000000B030: D3F30008 1C221954
	v_mfma_f32_16x16x32_fp8_fp8 v[8:11], a[86:87], a[14:15], v[8:11]// 00000000B038: D3F30008 1C221D56
	v_fma_f32 v80, v12, v4, v80                                // 00000000B040: D1CB0050 0542090C
	v_fma_f32 v81, v13, v4, v81                                // 00000000B048: D1CB0051 0546090D
	v_fma_f32 v82, v14, v4, v82                                // 00000000B050: D1CB0052 054A090E
	v_fma_f32 v83, v15, v4, v83                                // 00000000B058: D1CB0053 054E090F
	v_mfma_f32_16x16x32_fp8_fp8 v[12:15], a[88:89], a[8:9], 0  // 00000000B060: D3F3000C 1A021158
	buffer_load_dwordx4 a[156:159], v57, s[24:27], 0 offen offset:1024// 00000000B068: E05C1400 80869C39
	buffer_load_dword v46, s[20:23], 0 offen lds               // 00000000B070: E0511000 8005002E
	s_add_u32 m0, 0x100, s50                                   // 00000000B078: 807C32FF 00000100
	v_mfma_f32_16x16x32_fp8_fp8 v[12:15], a[90:91], a[10:11], v[12:15]// 00000000B080: D3F3000C 1C32155A
	v_mfma_f32_16x16x32_fp8_fp8 v[12:15], a[92:93], a[12:13], v[12:15]// 00000000B088: D3F3000C 1C32195C
	buffer_load_dword v47, s[20:23], 0 offen lds               // 00000000B090: E0511000 8005002F
	s_add_u32 m0, 0x200, s50                                   // 00000000B098: 807C32FF 00000200
	v_mfma_f32_16x16x32_fp8_fp8 v[12:15], a[94:95], a[14:15], v[12:15]// 00000000B0A0: D3F3000C 1C321D5E
	v_fma_f32 v96, v8, v6, v96                                 // 00000000B0A8: D1CB0060 05820D08
	v_fma_f32 v97, v9, v6, v97                                 // 00000000B0B0: D1CB0061 05860D09
	v_fma_f32 v98, v10, v6, v98                                // 00000000B0B8: D1CB0062 058A0D0A
	v_fma_f32 v99, v11, v6, v99                                // 00000000B0C0: D1CB0063 058E0D0B
	v_mul_f32_dpp v4, v24, v36 row_newbcast:0 row_mask:0xf bank_mask:0xf// 00000000B0C8: 0A0848FA FF015018
	v_mfma_f32_16x16x32_fp8_fp8 v[8:11], a[64:65], a[16:17], 0 // 00000000B0D0: D3F30008 1A022140
	buffer_load_dword v48, s[20:23], 0 offen lds               // 00000000B0D8: E0511000 80050030
	s_add_u32 m0, 0x300, s50                                   // 00000000B0E0: 807C32FF 00000300
	v_mfma_f32_16x16x32_fp8_fp8 v[8:11], a[66:67], a[18:19], v[8:11]// 00000000B0E8: D3F30008 1C222542
	v_mfma_f32_16x16x32_fp8_fp8 v[8:11], a[68:69], a[20:21], v[8:11]// 00000000B0F0: D3F30008 1C222944
	buffer_load_dword v49, s[20:23], 0 offen lds               // 00000000B0F8: E0511000 80050031
	s_add_u32 m0, 0x400, s50                                   // 00000000B100: 807C32FF 00000400
	v_mfma_f32_16x16x32_fp8_fp8 v[8:11], a[70:71], a[22:23], v[8:11]// 00000000B108: D3F30008 1C222D46
	v_fma_f32 v112, v12, v6, v112                              // 00000000B110: D1CB0070 05C20D0C
	v_fma_f32 v113, v13, v6, v113                              // 00000000B118: D1CB0071 05C60D0D
	v_fma_f32 v114, v14, v6, v114                              // 00000000B120: D1CB0072 05CA0D0E
	v_fma_f32 v115, v15, v6, v115                              // 00000000B128: D1CB0073 05CE0D0F
	v_mfma_f32_16x16x32_fp8_fp8 v[12:15], a[72:73], a[16:17], 0// 00000000B130: D3F3000C 1A022148
	buffer_load_dword v50, s[20:23], 0 offen lds               // 00000000B138: E0511000 80050032
	s_add_u32 m0, 0x500, s50                                   // 00000000B140: 807C32FF 00000500
	v_mfma_f32_16x16x32_fp8_fp8 v[12:15], a[74:75], a[18:19], v[12:15]// 00000000B148: D3F3000C 1C32254A
	v_mfma_f32_16x16x32_fp8_fp8 v[12:15], a[76:77], a[20:21], v[12:15]// 00000000B150: D3F3000C 1C32294C
	buffer_load_dword v51, s[20:23], 0 offen lds               // 00000000B158: E0511000 80050033
	s_add_u32 m0, 0x600, s50                                   // 00000000B160: 807C32FF 00000600
	v_mfma_f32_16x16x32_fp8_fp8 v[12:15], a[78:79], a[22:23], v[12:15]// 00000000B168: D3F3000C 1C322D4E
	v_fma_f32 v68, v8, v4, v68                                 // 00000000B170: D1CB0044 05120908
	v_fma_f32 v69, v9, v4, v69                                 // 00000000B178: D1CB0045 05160909
	v_fma_f32 v70, v10, v4, v70                                // 00000000B180: D1CB0046 051A090A
	v_fma_f32 v71, v11, v4, v71                                // 00000000B188: D1CB0047 051E090B
	v_mul_f32_dpp v6, v24, v36 row_newbcast:1 row_mask:0xf bank_mask:0xf// 00000000B190: 0A0C48FA FF015118
	v_mfma_f32_16x16x32_fp8_fp8 v[8:11], a[80:81], a[16:17], 0 // 00000000B198: D3F30008 1A022150
	buffer_load_dword v52, s[20:23], 0 offen lds               // 00000000B1A0: E0511000 80050034
	s_add_u32 m0, 0x700, s50                                   // 00000000B1A8: 807C32FF 00000700
	v_mfma_f32_16x16x32_fp8_fp8 v[8:11], a[82:83], a[18:19], v[8:11]// 00000000B1B0: D3F30008 1C222552
	v_mfma_f32_16x16x32_fp8_fp8 v[8:11], a[84:85], a[20:21], v[8:11]// 00000000B1B8: D3F30008 1C222954
	buffer_load_dword v53, s[20:23], 0 offen lds               // 00000000B1C0: E0511000 80050035
	s_add_u32 m0, 0, s48                                       // 00000000B1C8: 807C3080
	v_mfma_f32_16x16x32_fp8_fp8 v[8:11], a[86:87], a[22:23], v[8:11]// 00000000B1CC: D3F30008 1C222D56
	v_fma_f32 v84, v12, v4, v84                                // 00000000B1D4: D1CB0054 0552090C
	v_fma_f32 v85, v13, v4, v85                                // 00000000B1DC: D1CB0055 0556090D
	v_fma_f32 v86, v14, v4, v86                                // 00000000B1E4: D1CB0056 055A090E
	v_fma_f32 v87, v15, v4, v87                                // 00000000B1EC: D1CB0057 055E090F
	v_mfma_f32_16x16x32_fp8_fp8 v[12:15], a[88:89], a[16:17], 0// 00000000B1F4: D3F3000C 1A022158
	buffer_load_dword v42, v30, s[28:31], 0 offen              // 00000000B1FC: E0501000 80072A1E
	v_mfma_f32_16x16x32_fp8_fp8 v[12:15], a[90:91], a[18:19], v[12:15]// 00000000B204: D3F3000C 1C32255A
	v_mfma_f32_16x16x32_fp8_fp8 v[12:15], a[92:93], a[20:21], v[12:15]// 00000000B20C: D3F3000C 1C32295C
	buffer_load_dword v43, v31, s[28:31], 0 offen              // 00000000B214: E0501000 80072B1F
	v_mfma_f32_16x16x32_fp8_fp8 v[12:15], a[94:95], a[22:23], v[12:15]// 00000000B21C: D3F3000C 1C322D5E
	v_fma_f32 v100, v8, v6, v100                               // 00000000B224: D1CB0064 05920D08
	v_fma_f32 v101, v9, v6, v101                               // 00000000B22C: D1CB0065 05960D09
	v_fma_f32 v102, v10, v6, v102                              // 00000000B234: D1CB0066 059A0D0A
	v_fma_f32 v103, v11, v6, v103                              // 00000000B23C: D1CB0067 059E0D0B
	v_mul_f32_dpp v4, v24, v37 row_newbcast:0 row_mask:0xf bank_mask:0xf// 00000000B244: 0A084AFA FF015018
	v_mfma_f32_16x16x32_fp8_fp8 v[8:11], a[64:65], a[24:25], 0 // 00000000B24C: D3F30008 1A023140
	buffer_load_dword v44, v32, s[28:31], 0 offen              // 00000000B254: E0501000 80072C20
	v_mfma_f32_16x16x32_fp8_fp8 v[8:11], a[66:67], a[26:27], v[8:11]// 00000000B25C: D3F30008 1C223542
	v_mfma_f32_16x16x32_fp8_fp8 v[8:11], a[68:69], a[28:29], v[8:11]// 00000000B264: D3F30008 1C223944
	buffer_load_dword v45, v33, s[28:31], 0 offen              // 00000000B26C: E0501000 80072D21
	v_mfma_f32_16x16x32_fp8_fp8 v[8:11], a[70:71], a[30:31], v[8:11]// 00000000B274: D3F30008 1C223D46
	v_fma_f32 v116, v12, v6, v116                              // 00000000B27C: D1CB0074 05D20D0C
	v_fma_f32 v117, v13, v6, v117                              // 00000000B284: D1CB0075 05D60D0D
	v_fma_f32 v118, v14, v6, v118                              // 00000000B28C: D1CB0076 05DA0D0E
	v_fma_f32 v119, v15, v6, v119                              // 00000000B294: D1CB0077 05DE0D0F
	v_mfma_f32_16x16x32_fp8_fp8 v[12:15], a[72:73], a[24:25], 0// 00000000B29C: D3F3000C 1A023148
	v_mfma_f32_16x16x32_fp8_fp8 v[12:15], a[74:75], a[26:27], v[12:15]// 00000000B2A4: D3F3000C 1C32354A
	v_mfma_f32_16x16x32_fp8_fp8 v[12:15], a[76:77], a[28:29], v[12:15]// 00000000B2AC: D3F3000C 1C32394C
	v_mfma_f32_16x16x32_fp8_fp8 v[12:15], a[78:79], a[30:31], v[12:15]// 00000000B2B4: D3F3000C 1C323D4E
	v_fma_f32 v72, v8, v4, v72                                 // 00000000B2BC: D1CB0048 05220908
	v_fma_f32 v73, v9, v4, v73                                 // 00000000B2C4: D1CB0049 05260909
	v_fma_f32 v74, v10, v4, v74                                // 00000000B2CC: D1CB004A 052A090A
	v_fma_f32 v75, v11, v4, v75                                // 00000000B2D4: D1CB004B 052E090B
	v_mul_f32_dpp v6, v24, v37 row_newbcast:1 row_mask:0xf bank_mask:0xf// 00000000B2DC: 0A0C4AFA FF015118
	v_mfma_f32_16x16x32_fp8_fp8 v[8:11], a[80:81], a[24:25], 0 // 00000000B2E4: D3F30008 1A023150
	v_mfma_f32_16x16x32_fp8_fp8 v[8:11], a[82:83], a[26:27], v[8:11]// 00000000B2EC: D3F30008 1C223552
	v_mfma_f32_16x16x32_fp8_fp8 v[8:11], a[84:85], a[28:29], v[8:11]// 00000000B2F4: D3F30008 1C223954
	v_mfma_f32_16x16x32_fp8_fp8 v[8:11], a[86:87], a[30:31], v[8:11]// 00000000B2FC: D3F30008 1C223D56
	v_fma_f32 v88, v12, v4, v88                                // 00000000B304: D1CB0058 0562090C
	v_fma_f32 v89, v13, v4, v89                                // 00000000B30C: D1CB0059 0566090D
	v_fma_f32 v90, v14, v4, v90                                // 00000000B314: D1CB005A 056A090E
	v_fma_f32 v91, v15, v4, v91                                // 00000000B31C: D1CB005B 056E090F
	v_mfma_f32_16x16x32_fp8_fp8 v[12:15], a[88:89], a[24:25], 0// 00000000B324: D3F3000C 1A023158
	v_mfma_f32_16x16x32_fp8_fp8 v[12:15], a[90:91], a[26:27], v[12:15]// 00000000B32C: D3F3000C 1C32355A
	v_mfma_f32_16x16x32_fp8_fp8 v[12:15], a[92:93], a[28:29], v[12:15]// 00000000B334: D3F3000C 1C32395C
	v_mfma_f32_16x16x32_fp8_fp8 v[12:15], a[94:95], a[30:31], v[12:15]// 00000000B33C: D3F3000C 1C323D5E
	v_fma_f32 v104, v8, v6, v104                               // 00000000B344: D1CB0068 05A20D08
	v_fma_f32 v105, v9, v6, v105                               // 00000000B34C: D1CB0069 05A60D09
	v_fma_f32 v106, v10, v6, v106                              // 00000000B354: D1CB006A 05AA0D0A
	v_fma_f32 v107, v11, v6, v107                              // 00000000B35C: D1CB006B 05AE0D0B
	v_fma_f32 v120, v12, v6, v120                              // 00000000B364: D1CB0078 05E20D0C
	v_fma_f32 v121, v13, v6, v121                              // 00000000B36C: D1CB0079 05E60D0D
	v_fma_f32 v122, v14, v6, v122                              // 00000000B374: D1CB007A 05EA0D0E
	v_fma_f32 v123, v15, v6, v123                              // 00000000B37C: D1CB007B 05EE0D0F
	s_waitcnt vmcnt(21)                                        // 00000000B384: BF8C4F75
	s_barrier                                                  // 00000000B388: BF8A0000
	v_mul_f32_dpp v4, v27, v34 row_newbcast:0 row_mask:0xf bank_mask:0xf// 00000000B38C: 0A0844FA FF01501B
	v_mfma_f32_16x16x32_fp8_fp8 v[8:11], a[96:97], a[0:1], 0   // 00000000B394: D3F30008 1A020160
	buffer_load_dword v28, v23, s[32:35], 0 offen              // 00000000B39C: E0501000 80081C17
	buffer_load_dwordx4 a[64:67], v54, s[84:87], 0 offen       // 00000000B3A4: E05C1000 80954036
	v_mfma_f32_16x16x32_fp8_fp8 v[8:11], a[98:99], a[2:3], v[8:11]// 00000000B3AC: D3F30008 1C220562
	v_mfma_f32_16x16x32_fp8_fp8 v[8:11], a[100:101], a[4:5], v[8:11]// 00000000B3B4: D3F30008 1C220964
	ds_read_b128 a[32:35], v2 offset:8320                      // 00000000B3BC: DBFE2080 20000002
	ds_read_b128 a[36:39], v2 offset:8384                      // 00000000B3C4: DBFE20C0 24000002
	v_mfma_f32_16x16x32_fp8_fp8 v[8:11], a[102:103], a[6:7], v[8:11]// 00000000B3CC: D3F30008 1C220D66
	v_mfma_f32_16x16x32_fp8_fp8 v[12:15], a[104:105], a[0:1], 0// 00000000B3D4: D3F3000C 1A020168
	buffer_load_dwordx4 a[68:71], v54, s[84:87], 0 offen offset:1024// 00000000B3DC: E05C1400 80954436
	v_mfma_f32_16x16x32_fp8_fp8 v[12:15], a[106:107], a[2:3], v[12:15]// 00000000B3E4: D3F3000C 1C32056A
	v_mfma_f32_16x16x32_fp8_fp8 v[12:15], a[108:109], a[4:5], v[12:15]// 00000000B3EC: D3F3000C 1C32096C
	ds_read_b128 a[40:43], v2 offset:8832                      // 00000000B3F4: DBFE2280 28000002
	ds_read_b128 a[44:47], v2 offset:8896                      // 00000000B3FC: DBFE22C0 2C000002
	v_mfma_f32_16x16x32_fp8_fp8 v[12:15], a[110:111], a[6:7], v[12:15]// 00000000B404: D3F3000C 1C320D6E
	v_fma_f32 v124, v8, v4, v124                               // 00000000B40C: D1CB007C 05F20908
	v_fma_f32 v125, v9, v4, v125                               // 00000000B414: D1CB007D 05F60909
	v_fma_f32 v126, v10, v4, v126                              // 00000000B41C: D1CB007E 05FA090A
	v_fma_f32 v127, v11, v4, v127                              // 00000000B424: D1CB007F 05FE090B
	v_mul_f32_dpp v6, v27, v34 row_newbcast:1 row_mask:0xf bank_mask:0xf// 00000000B42C: 0A0C44FA FF01511B
	v_mfma_f32_16x16x32_fp8_fp8 v[8:11], a[112:113], a[0:1], 0 // 00000000B434: D3F30008 1A020170
	buffer_load_dwordx4 a[72:75], v55, s[84:87], 0 offen       // 00000000B43C: E05C1000 80954837
	v_mfma_f32_16x16x32_fp8_fp8 v[8:11], a[114:115], a[2:3], v[8:11]// 00000000B444: D3F30008 1C220572
	v_mfma_f32_16x16x32_fp8_fp8 v[8:11], a[116:117], a[4:5], v[8:11]// 00000000B44C: D3F30008 1C220974
	ds_read_b128 a[48:51], v2 offset:9344                      // 00000000B454: DBFE2480 30000002
	ds_read_b128 a[52:55], v2 offset:9408                      // 00000000B45C: DBFE24C0 34000002
	v_mfma_f32_16x16x32_fp8_fp8 v[8:11], a[118:119], a[6:7], v[8:11]// 00000000B464: D3F30008 1C220D76
	v_fma_f32 v140, v12, v4, v140                              // 00000000B46C: D1CB008C 0632090C
	v_fma_f32 v141, v13, v4, v141                              // 00000000B474: D1CB008D 0636090D
	v_fma_f32 v142, v14, v4, v142                              // 00000000B47C: D1CB008E 063A090E
	v_fma_f32 v143, v15, v4, v143                              // 00000000B484: D1CB008F 063E090F
	v_mfma_f32_16x16x32_fp8_fp8 v[12:15], a[120:121], a[0:1], 0// 00000000B48C: D3F3000C 1A020178
	buffer_load_dwordx4 a[76:79], v55, s[84:87], 0 offen offset:1024// 00000000B494: E05C1400 80954C37
	v_mfma_f32_16x16x32_fp8_fp8 v[12:15], a[122:123], a[2:3], v[12:15]// 00000000B49C: D3F3000C 1C32057A
	v_mfma_f32_16x16x32_fp8_fp8 v[12:15], a[124:125], a[4:5], v[12:15]// 00000000B4A4: D3F3000C 1C32097C
	ds_read_b128 a[56:59], v2 offset:9856                      // 00000000B4AC: DBFE2680 38000002
	ds_read_b128 a[60:63], v2 offset:9920                      // 00000000B4B4: DBFE26C0 3C000002
	v_mfma_f32_16x16x32_fp8_fp8 v[12:15], a[126:127], a[6:7], v[12:15]// 00000000B4BC: D3F3000C 1C320D7E
	v_fma_f32 v156, v8, v6, v156                               // 00000000B4C4: D1CB009C 06720D08
	v_fma_f32 v157, v9, v6, v157                               // 00000000B4CC: D1CB009D 06760D09
	v_fma_f32 v158, v10, v6, v158                              // 00000000B4D4: D1CB009E 067A0D0A
	v_fma_f32 v159, v11, v6, v159                              // 00000000B4DC: D1CB009F 067E0D0B
	v_mul_f32_dpp v4, v27, v35 row_newbcast:0 row_mask:0xf bank_mask:0xf// 00000000B4E4: 0A0846FA FF01501B
	v_mfma_f32_16x16x32_fp8_fp8 v[8:11], a[96:97], a[8:9], 0   // 00000000B4EC: D3F30008 1A021160
	buffer_load_dwordx4 a[80:83], v56, s[84:87], 0 offen       // 00000000B4F4: E05C1000 80955038
	v_mfma_f32_16x16x32_fp8_fp8 v[8:11], a[98:99], a[10:11], v[8:11]// 00000000B4FC: D3F30008 1C221562
	v_mfma_f32_16x16x32_fp8_fp8 v[8:11], a[100:101], a[12:13], v[8:11]// 00000000B504: D3F30008 1C221964
	v_mfma_f32_16x16x32_fp8_fp8 v[8:11], a[102:103], a[14:15], v[8:11]// 00000000B50C: D3F30008 1C221D66
	v_fma_f32 v172, v12, v6, v172                              // 00000000B514: D1CB00AC 06B20D0C
	v_fma_f32 v173, v13, v6, v173                              // 00000000B51C: D1CB00AD 06B60D0D
	v_fma_f32 v174, v14, v6, v174                              // 00000000B524: D1CB00AE 06BA0D0E
	v_fma_f32 v175, v15, v6, v175                              // 00000000B52C: D1CB00AF 06BE0D0F
	v_mfma_f32_16x16x32_fp8_fp8 v[12:15], a[104:105], a[8:9], 0// 00000000B534: D3F3000C 1A021168
	buffer_load_dwordx4 a[84:87], v56, s[84:87], 0 offen offset:1024// 00000000B53C: E05C1400 80955438
	v_mfma_f32_16x16x32_fp8_fp8 v[12:15], a[106:107], a[10:11], v[12:15]// 00000000B544: D3F3000C 1C32156A
	v_mfma_f32_16x16x32_fp8_fp8 v[12:15], a[108:109], a[12:13], v[12:15]// 00000000B54C: D3F3000C 1C32196C
	v_mfma_f32_16x16x32_fp8_fp8 v[12:15], a[110:111], a[14:15], v[12:15]// 00000000B554: D3F3000C 1C321D6E
	v_fma_f32 v128, v8, v4, v128                               // 00000000B55C: D1CB0080 06020908
	v_fma_f32 v129, v9, v4, v129                               // 00000000B564: D1CB0081 06060909
	v_fma_f32 v130, v10, v4, v130                              // 00000000B56C: D1CB0082 060A090A
	v_fma_f32 v131, v11, v4, v131                              // 00000000B574: D1CB0083 060E090B
	v_mul_f32_dpp v6, v27, v35 row_newbcast:1 row_mask:0xf bank_mask:0xf// 00000000B57C: 0A0C46FA FF01511B
	v_mfma_f32_16x16x32_fp8_fp8 v[8:11], a[112:113], a[8:9], 0 // 00000000B584: D3F30008 1A021170
	buffer_load_dwordx4 a[88:91], v57, s[84:87], 0 offen       // 00000000B58C: E05C1000 80955839
	v_mfma_f32_16x16x32_fp8_fp8 v[8:11], a[114:115], a[10:11], v[8:11]// 00000000B594: D3F30008 1C221572
	v_mfma_f32_16x16x32_fp8_fp8 v[8:11], a[116:117], a[12:13], v[8:11]// 00000000B59C: D3F30008 1C221974
	v_mfma_f32_16x16x32_fp8_fp8 v[8:11], a[118:119], a[14:15], v[8:11]// 00000000B5A4: D3F30008 1C221D76
	v_fma_f32 v144, v12, v4, v144                              // 00000000B5AC: D1CB0090 0642090C
	v_fma_f32 v145, v13, v4, v145                              // 00000000B5B4: D1CB0091 0646090D
	v_fma_f32 v146, v14, v4, v146                              // 00000000B5BC: D1CB0092 064A090E
	v_fma_f32 v147, v15, v4, v147                              // 00000000B5C4: D1CB0093 064E090F
	v_mfma_f32_16x16x32_fp8_fp8 v[12:15], a[120:121], a[8:9], 0// 00000000B5CC: D3F3000C 1A021178
	buffer_load_dwordx4 a[92:95], v57, s[84:87], 0 offen offset:1024// 00000000B5D4: E05C1400 80955C39
	v_mfma_f32_16x16x32_fp8_fp8 v[12:15], a[122:123], a[10:11], v[12:15]// 00000000B5DC: D3F3000C 1C32157A
	v_mfma_f32_16x16x32_fp8_fp8 v[12:15], a[124:125], a[12:13], v[12:15]// 00000000B5E4: D3F3000C 1C32197C
	v_mfma_f32_16x16x32_fp8_fp8 v[12:15], a[126:127], a[14:15], v[12:15]// 00000000B5EC: D3F3000C 1C321D7E
	v_fma_f32 v160, v8, v6, v160                               // 00000000B5F4: D1CB00A0 06820D08
	v_fma_f32 v161, v9, v6, v161                               // 00000000B5FC: D1CB00A1 06860D09
	v_fma_f32 v162, v10, v6, v162                              // 00000000B604: D1CB00A2 068A0D0A
	v_fma_f32 v163, v11, v6, v163                              // 00000000B60C: D1CB00A3 068E0D0B
	v_mul_f32_dpp v4, v27, v36 row_newbcast:0 row_mask:0xf bank_mask:0xf// 00000000B614: 0A0848FA FF01501B
	v_mfma_f32_16x16x32_fp8_fp8 v[8:11], a[96:97], a[16:17], 0 // 00000000B61C: D3F30008 1A022160
	v_mfma_f32_16x16x32_fp8_fp8 v[8:11], a[98:99], a[18:19], v[8:11]// 00000000B624: D3F30008 1C222562
	v_mfma_f32_16x16x32_fp8_fp8 v[8:11], a[100:101], a[20:21], v[8:11]// 00000000B62C: D3F30008 1C222964
	v_mfma_f32_16x16x32_fp8_fp8 v[8:11], a[102:103], a[22:23], v[8:11]// 00000000B634: D3F30008 1C222D66
	v_fma_f32 v176, v12, v6, v176                              // 00000000B63C: D1CB00B0 06C20D0C
	v_fma_f32 v177, v13, v6, v177                              // 00000000B644: D1CB00B1 06C60D0D
	v_fma_f32 v178, v14, v6, v178                              // 00000000B64C: D1CB00B2 06CA0D0E
	v_fma_f32 v179, v15, v6, v179                              // 00000000B654: D1CB00B3 06CE0D0F
	v_mfma_f32_16x16x32_fp8_fp8 v[12:15], a[104:105], a[16:17], 0// 00000000B65C: D3F3000C 1A022168
	v_mfma_f32_16x16x32_fp8_fp8 v[12:15], a[106:107], a[18:19], v[12:15]// 00000000B664: D3F3000C 1C32256A
	v_mfma_f32_16x16x32_fp8_fp8 v[12:15], a[108:109], a[20:21], v[12:15]// 00000000B66C: D3F3000C 1C32296C
	v_mfma_f32_16x16x32_fp8_fp8 v[12:15], a[110:111], a[22:23], v[12:15]// 00000000B674: D3F3000C 1C322D6E
	v_fma_f32 v132, v8, v4, v132                               // 00000000B67C: D1CB0084 06120908
	v_fma_f32 v133, v9, v4, v133                               // 00000000B684: D1CB0085 06160909
	v_fma_f32 v134, v10, v4, v134                              // 00000000B68C: D1CB0086 061A090A
	v_fma_f32 v135, v11, v4, v135                              // 00000000B694: D1CB0087 061E090B
	v_mul_f32_dpp v6, v27, v36 row_newbcast:1 row_mask:0xf bank_mask:0xf// 00000000B69C: 0A0C48FA FF01511B
	v_mfma_f32_16x16x32_fp8_fp8 v[8:11], a[112:113], a[16:17], 0// 00000000B6A4: D3F30008 1A022170
	v_mfma_f32_16x16x32_fp8_fp8 v[8:11], a[114:115], a[18:19], v[8:11]// 00000000B6AC: D3F30008 1C222572
	v_mfma_f32_16x16x32_fp8_fp8 v[8:11], a[116:117], a[20:21], v[8:11]// 00000000B6B4: D3F30008 1C222974
	v_mfma_f32_16x16x32_fp8_fp8 v[8:11], a[118:119], a[22:23], v[8:11]// 00000000B6BC: D3F30008 1C222D76
	v_fma_f32 v148, v12, v4, v148                              // 00000000B6C4: D1CB0094 0652090C
	v_fma_f32 v149, v13, v4, v149                              // 00000000B6CC: D1CB0095 0656090D
	v_fma_f32 v150, v14, v4, v150                              // 00000000B6D4: D1CB0096 065A090E
	v_fma_f32 v151, v15, v4, v151                              // 00000000B6DC: D1CB0097 065E090F
	v_mfma_f32_16x16x32_fp8_fp8 v[12:15], a[120:121], a[16:17], 0// 00000000B6E4: D3F3000C 1A022178
	v_mfma_f32_16x16x32_fp8_fp8 v[12:15], a[122:123], a[18:19], v[12:15]// 00000000B6EC: D3F3000C 1C32257A
	v_mfma_f32_16x16x32_fp8_fp8 v[12:15], a[124:125], a[20:21], v[12:15]// 00000000B6F4: D3F3000C 1C32297C
	v_mfma_f32_16x16x32_fp8_fp8 v[12:15], a[126:127], a[22:23], v[12:15]// 00000000B6FC: D3F3000C 1C322D7E
	v_fma_f32 v164, v8, v6, v164                               // 00000000B704: D1CB00A4 06920D08
	v_fma_f32 v165, v9, v6, v165                               // 00000000B70C: D1CB00A5 06960D09
	v_fma_f32 v166, v10, v6, v166                              // 00000000B714: D1CB00A6 069A0D0A
	v_fma_f32 v167, v11, v6, v167                              // 00000000B71C: D1CB00A7 069E0D0B
	v_mul_f32_dpp v4, v27, v37 row_newbcast:0 row_mask:0xf bank_mask:0xf// 00000000B724: 0A084AFA FF01501B
	v_mfma_f32_16x16x32_fp8_fp8 v[8:11], a[96:97], a[24:25], 0 // 00000000B72C: D3F30008 1A023160
	v_mfma_f32_16x16x32_fp8_fp8 v[8:11], a[98:99], a[26:27], v[8:11]// 00000000B734: D3F30008 1C223562
	v_mfma_f32_16x16x32_fp8_fp8 v[8:11], a[100:101], a[28:29], v[8:11]// 00000000B73C: D3F30008 1C223964
	v_mfma_f32_16x16x32_fp8_fp8 v[8:11], a[102:103], a[30:31], v[8:11]// 00000000B744: D3F30008 1C223D66
	v_fma_f32 v180, v12, v6, v180                              // 00000000B74C: D1CB00B4 06D20D0C
	v_fma_f32 v181, v13, v6, v181                              // 00000000B754: D1CB00B5 06D60D0D
	v_fma_f32 v182, v14, v6, v182                              // 00000000B75C: D1CB00B6 06DA0D0E
	v_fma_f32 v183, v15, v6, v183                              // 00000000B764: D1CB00B7 06DE0D0F
	v_mfma_f32_16x16x32_fp8_fp8 v[12:15], a[104:105], a[24:25], 0// 00000000B76C: D3F3000C 1A023168
	v_mfma_f32_16x16x32_fp8_fp8 v[12:15], a[106:107], a[26:27], v[12:15]// 00000000B774: D3F3000C 1C32356A
	v_mfma_f32_16x16x32_fp8_fp8 v[12:15], a[108:109], a[28:29], v[12:15]// 00000000B77C: D3F3000C 1C32396C
	v_mfma_f32_16x16x32_fp8_fp8 v[12:15], a[110:111], a[30:31], v[12:15]// 00000000B784: D3F3000C 1C323D6E
	v_fma_f32 v136, v8, v4, v136                               // 00000000B78C: D1CB0088 06220908
	v_fma_f32 v137, v9, v4, v137                               // 00000000B794: D1CB0089 06260909
	v_fma_f32 v138, v10, v4, v138                              // 00000000B79C: D1CB008A 062A090A
	v_fma_f32 v139, v11, v4, v139                              // 00000000B7A4: D1CB008B 062E090B
	v_mul_f32_dpp v6, v27, v37 row_newbcast:1 row_mask:0xf bank_mask:0xf// 00000000B7AC: 0A0C4AFA FF01511B
	v_mfma_f32_16x16x32_fp8_fp8 v[8:11], a[112:113], a[24:25], 0// 00000000B7B4: D3F30008 1A023170
	s_add_u32 s60, 0x180, s80                                  // 00000000B7BC: 803C50FF 00000180
	s_cmp_lt_u32 s60, s81                                      // 00000000B7C4: BF0A513C
	s_cselect_b32 s57, s57, 0                                  // 00000000B7C8: 85398039
	s_cselect_b32 s3, s3, 0                                    // 00000000B7CC: 85038003
	v_mfma_f32_16x16x32_fp8_fp8 v[8:11], a[114:115], a[26:27], v[8:11]// 00000000B7D0: D3F30008 1C223572
	s_add_u32 s60, 0x100, s80                                  // 00000000B7D8: 803C50FF 00000100
	s_cmp_lt_u32 s60, s81                                      // 00000000B7E0: BF0A513C
	s_cselect_b32 s58, s58, 0                                  // 00000000B7E4: 853A803A
	v_mfma_f32_16x16x32_fp8_fp8 v[8:11], a[116:117], a[28:29], v[8:11]// 00000000B7E8: D3F30008 1C223974
	s_add_u32 s60, 0x100, s80                                  // 00000000B7F0: 803C50FF 00000100
	s_cmp_lt_u32 s60, s81                                      // 00000000B7F8: BF0A513C
	s_cselect_b32 s83, s83, 0                                  // 00000000B7FC: 85538053
	s_cselect_b32 s4, s4, 0                                    // 00000000B800: 85048004
	v_mfma_f32_16x16x32_fp8_fp8 v[8:11], a[118:119], a[30:31], v[8:11]// 00000000B804: D3F30008 1C223D76
	s_add_u32 s24, s58, s24                                    // 00000000B80C: 8018183A
	s_addc_u32 s25, 0, s25                                     // 00000000B810: 82191980
	v_fma_f32 v152, v12, v4, v152                              // 00000000B814: D1CB0098 0662090C
	v_fma_f32 v153, v13, v4, v153                              // 00000000B81C: D1CB0099 0666090D
	v_fma_f32 v154, v14, v4, v154                              // 00000000B824: D1CB009A 066A090E
	v_fma_f32 v155, v15, v4, v155                              // 00000000B82C: D1CB009B 066E090F
	v_mfma_f32_16x16x32_fp8_fp8 v[12:15], a[120:121], a[24:25], 0// 00000000B834: D3F3000C 1A023178
	s_add_u32 s20, s57, s20                                    // 00000000B83C: 80141439
	s_addc_u32 s21, 0, s21                                     // 00000000B840: 82151580
	s_add_u32 s28, s3, s28                                     // 00000000B844: 801C1C03
	s_addc_u32 s29, 0, s29                                     // 00000000B848: 821D1D80
	v_mfma_f32_16x16x32_fp8_fp8 v[12:15], a[122:123], a[26:27], v[12:15]// 00000000B84C: D3F3000C 1C32357A
	s_add_u32 s84, s83, s84                                    // 00000000B854: 80545453
	s_addc_u32 s85, 0, s85                                     // 00000000B858: 82555580
	v_mfma_f32_16x16x32_fp8_fp8 v[12:15], a[124:125], a[28:29], v[12:15]// 00000000B85C: D3F3000C 1C32397C
	s_add_u32 s32, s4, s32                                     // 00000000B864: 80202004
	s_addc_u32 s33, 0, s33                                     // 00000000B868: 82212180
	v_mfma_f32_16x16x32_fp8_fp8 v[12:15], a[126:127], a[30:31], v[12:15]// 00000000B86C: D3F3000C 1C323D7E
	v_fma_f32 v168, v8, v6, v168                               // 00000000B874: D1CB00A8 06A20D08
	v_fma_f32 v169, v9, v6, v169                               // 00000000B87C: D1CB00A9 06A60D09
	v_fma_f32 v170, v10, v6, v170                              // 00000000B884: D1CB00AA 06AA0D0A
	v_fma_f32 v171, v11, v6, v171                              // 00000000B88C: D1CB00AB 06AE0D0B
	v_fma_f32 v184, v12, v6, v184                              // 00000000B894: D1CB00B8 06E20D0C
	v_fma_f32 v185, v13, v6, v185                              // 00000000B89C: D1CB00B9 06E60D0D
	v_fma_f32 v186, v14, v6, v186                              // 00000000B8A4: D1CB00BA 06EA0D0E
	v_fma_f32 v187, v15, v6, v187                              // 00000000B8AC: D1CB00BB 06EE0D0F
	s_addk_i32 s80, 0x80                                       // 00000000B8B4: B7500080
	s_cmp_lt_i32 s80, s81                                      // 00000000B8B8: BF045150
	s_cbranch_scc0 label_30B1                                  // 00000000B8BC: BF840CFE
	s_waitcnt vmcnt(21) lgkmcnt(0)                             // 00000000B8C0: BF8C4075
	v_mul_f32_dpp v4, v25, v38 row_newbcast:0 row_mask:0xf bank_mask:0xf// 00000000B8C4: 0A084CFA FF015019
	v_mfma_f32_16x16x32_fp8_fp8 v[8:11], a[128:129], a[32:33], 0// 00000000B8CC: D3F30008 1A024180
	buffer_load_dword v26, v22, s[32:35], 0 offen              // 00000000B8D4: E0501000 80081A16
	buffer_load_dwordx4 a[96:99], v54, s[24:27], 0 offen       // 00000000B8DC: E05C1000 80866036
	v_mfma_f32_16x16x32_fp8_fp8 v[8:11], a[130:131], a[34:35], v[8:11]// 00000000B8E4: D3F30008 1C224582
	v_mfma_f32_16x16x32_fp8_fp8 v[8:11], a[132:133], a[36:37], v[8:11]// 00000000B8EC: D3F30008 1C224984
	v_mfma_f32_16x16x32_fp8_fp8 v[8:11], a[134:135], a[38:39], v[8:11]// 00000000B8F4: D3F30008 1C224D86
	v_mfma_f32_16x16x32_fp8_fp8 v[12:15], a[136:137], a[32:33], 0// 00000000B8FC: D3F3000C 1A024188
	buffer_load_dwordx4 a[100:103], v54, s[24:27], 0 offen offset:1024// 00000000B904: E05C1400 80866436
	v_mfma_f32_16x16x32_fp8_fp8 v[12:15], a[138:139], a[34:35], v[12:15]// 00000000B90C: D3F3000C 1C32458A
	v_mfma_f32_16x16x32_fp8_fp8 v[12:15], a[140:141], a[36:37], v[12:15]// 00000000B914: D3F3000C 1C32498C
	v_mfma_f32_16x16x32_fp8_fp8 v[12:15], a[142:143], a[38:39], v[12:15]// 00000000B91C: D3F3000C 1C324D8E
	v_fma_f32 v60, v8, v4, v60                                 // 00000000B924: D1CB003C 04F20908
	v_fma_f32 v61, v9, v4, v61                                 // 00000000B92C: D1CB003D 04F60909
	v_fma_f32 v62, v10, v4, v62                                // 00000000B934: D1CB003E 04FA090A
	v_fma_f32 v63, v11, v4, v63                                // 00000000B93C: D1CB003F 04FE090B
	v_mul_f32_dpp v6, v25, v38 row_newbcast:1 row_mask:0xf bank_mask:0xf// 00000000B944: 0A0C4CFA FF015119
	v_mfma_f32_16x16x32_fp8_fp8 v[8:11], a[144:145], a[32:33], 0// 00000000B94C: D3F30008 1A024190
	buffer_load_dwordx4 a[104:107], v55, s[24:27], 0 offen     // 00000000B954: E05C1000 80866837
	v_mfma_f32_16x16x32_fp8_fp8 v[8:11], a[146:147], a[34:35], v[8:11]// 00000000B95C: D3F30008 1C224592
	v_mfma_f32_16x16x32_fp8_fp8 v[8:11], a[148:149], a[36:37], v[8:11]// 00000000B964: D3F30008 1C224994
	v_mfma_f32_16x16x32_fp8_fp8 v[8:11], a[150:151], a[38:39], v[8:11]// 00000000B96C: D3F30008 1C224D96
	v_fma_f32 v76, v12, v4, v76                                // 00000000B974: D1CB004C 0532090C
	v_fma_f32 v77, v13, v4, v77                                // 00000000B97C: D1CB004D 0536090D
	v_fma_f32 v78, v14, v4, v78                                // 00000000B984: D1CB004E 053A090E
	v_fma_f32 v79, v15, v4, v79                                // 00000000B98C: D1CB004F 053E090F
	v_mfma_f32_16x16x32_fp8_fp8 v[12:15], a[152:153], a[32:33], 0// 00000000B994: D3F3000C 1A024198
	buffer_load_dwordx4 a[108:111], v55, s[24:27], 0 offen offset:1024// 00000000B99C: E05C1400 80866C37
	v_mfma_f32_16x16x32_fp8_fp8 v[12:15], a[154:155], a[34:35], v[12:15]// 00000000B9A4: D3F3000C 1C32459A
	v_mfma_f32_16x16x32_fp8_fp8 v[12:15], a[156:157], a[36:37], v[12:15]// 00000000B9AC: D3F3000C 1C32499C
	v_mfma_f32_16x16x32_fp8_fp8 v[12:15], a[158:159], a[38:39], v[12:15]// 00000000B9B4: D3F3000C 1C324D9E
	v_fma_f32 v92, v8, v6, v92                                 // 00000000B9BC: D1CB005C 05720D08
	v_fma_f32 v93, v9, v6, v93                                 // 00000000B9C4: D1CB005D 05760D09
	v_fma_f32 v94, v10, v6, v94                                // 00000000B9CC: D1CB005E 057A0D0A
	v_fma_f32 v95, v11, v6, v95                                // 00000000B9D4: D1CB005F 057E0D0B
	v_mul_f32_dpp v4, v25, v39 row_newbcast:0 row_mask:0xf bank_mask:0xf// 00000000B9DC: 0A084EFA FF015019
	v_mfma_f32_16x16x32_fp8_fp8 v[8:11], a[128:129], a[40:41], 0// 00000000B9E4: D3F30008 1A025180
	buffer_load_dwordx4 a[112:115], v56, s[24:27], 0 offen     // 00000000B9EC: E05C1000 80867038
	v_mfma_f32_16x16x32_fp8_fp8 v[8:11], a[130:131], a[42:43], v[8:11]// 00000000B9F4: D3F30008 1C225582
	v_mfma_f32_16x16x32_fp8_fp8 v[8:11], a[132:133], a[44:45], v[8:11]// 00000000B9FC: D3F30008 1C225984
	v_mfma_f32_16x16x32_fp8_fp8 v[8:11], a[134:135], a[46:47], v[8:11]// 00000000BA04: D3F30008 1C225D86
	v_fma_f32 v108, v12, v6, v108                              // 00000000BA0C: D1CB006C 05B20D0C
	v_fma_f32 v109, v13, v6, v109                              // 00000000BA14: D1CB006D 05B60D0D
	v_fma_f32 v110, v14, v6, v110                              // 00000000BA1C: D1CB006E 05BA0D0E
	v_fma_f32 v111, v15, v6, v111                              // 00000000BA24: D1CB006F 05BE0D0F
	v_mfma_f32_16x16x32_fp8_fp8 v[12:15], a[136:137], a[40:41], 0// 00000000BA2C: D3F3000C 1A025188
	buffer_load_dwordx4 a[116:119], v56, s[24:27], 0 offen offset:1024// 00000000BA34: E05C1400 80867438
	v_mfma_f32_16x16x32_fp8_fp8 v[12:15], a[138:139], a[42:43], v[12:15]// 00000000BA3C: D3F3000C 1C32558A
	v_mfma_f32_16x16x32_fp8_fp8 v[12:15], a[140:141], a[44:45], v[12:15]// 00000000BA44: D3F3000C 1C32598C
	v_mfma_f32_16x16x32_fp8_fp8 v[12:15], a[142:143], a[46:47], v[12:15]// 00000000BA4C: D3F3000C 1C325D8E
	v_fma_f32 v64, v8, v4, v64                                 // 00000000BA54: D1CB0040 05020908
	v_fma_f32 v65, v9, v4, v65                                 // 00000000BA5C: D1CB0041 05060909
	v_fma_f32 v66, v10, v4, v66                                // 00000000BA64: D1CB0042 050A090A
	v_fma_f32 v67, v11, v4, v67                                // 00000000BA6C: D1CB0043 050E090B
	v_mul_f32_dpp v6, v25, v39 row_newbcast:1 row_mask:0xf bank_mask:0xf// 00000000BA74: 0A0C4EFA FF015119
	v_mfma_f32_16x16x32_fp8_fp8 v[8:11], a[144:145], a[40:41], 0// 00000000BA7C: D3F30008 1A025190
	buffer_load_dwordx4 a[120:123], v57, s[24:27], 0 offen     // 00000000BA84: E05C1000 80867839
	v_mfma_f32_16x16x32_fp8_fp8 v[8:11], a[146:147], a[42:43], v[8:11]// 00000000BA8C: D3F30008 1C225592
	v_mfma_f32_16x16x32_fp8_fp8 v[8:11], a[148:149], a[44:45], v[8:11]// 00000000BA94: D3F30008 1C225994
	v_mfma_f32_16x16x32_fp8_fp8 v[8:11], a[150:151], a[46:47], v[8:11]// 00000000BA9C: D3F30008 1C225D96
	v_fma_f32 v80, v12, v4, v80                                // 00000000BAA4: D1CB0050 0542090C
	v_fma_f32 v81, v13, v4, v81                                // 00000000BAAC: D1CB0051 0546090D
	v_fma_f32 v82, v14, v4, v82                                // 00000000BAB4: D1CB0052 054A090E
	v_fma_f32 v83, v15, v4, v83                                // 00000000BABC: D1CB0053 054E090F
	v_mfma_f32_16x16x32_fp8_fp8 v[12:15], a[152:153], a[40:41], 0// 00000000BAC4: D3F3000C 1A025198
	buffer_load_dwordx4 a[124:127], v57, s[24:27], 0 offen offset:1024// 00000000BACC: E05C1400 80867C39
	buffer_load_dword v46, s[20:23], 0 offen lds               // 00000000BAD4: E0511000 8005002E
	s_add_u32 m0, 0x100, s48                                   // 00000000BADC: 807C30FF 00000100
	v_mfma_f32_16x16x32_fp8_fp8 v[12:15], a[154:155], a[42:43], v[12:15]// 00000000BAE4: D3F3000C 1C32559A
	v_mfma_f32_16x16x32_fp8_fp8 v[12:15], a[156:157], a[44:45], v[12:15]// 00000000BAEC: D3F3000C 1C32599C
	buffer_load_dword v47, s[20:23], 0 offen lds               // 00000000BAF4: E0511000 8005002F
	s_add_u32 m0, 0x200, s48                                   // 00000000BAFC: 807C30FF 00000200
	v_mfma_f32_16x16x32_fp8_fp8 v[12:15], a[158:159], a[46:47], v[12:15]// 00000000BB04: D3F3000C 1C325D9E
	v_fma_f32 v96, v8, v6, v96                                 // 00000000BB0C: D1CB0060 05820D08
	v_fma_f32 v97, v9, v6, v97                                 // 00000000BB14: D1CB0061 05860D09
	v_fma_f32 v98, v10, v6, v98                                // 00000000BB1C: D1CB0062 058A0D0A
	v_fma_f32 v99, v11, v6, v99                                // 00000000BB24: D1CB0063 058E0D0B
	v_mul_f32_dpp v4, v25, v40 row_newbcast:0 row_mask:0xf bank_mask:0xf// 00000000BB2C: 0A0850FA FF015019
	v_mfma_f32_16x16x32_fp8_fp8 v[8:11], a[128:129], a[48:49], 0// 00000000BB34: D3F30008 1A026180
	buffer_load_dword v48, s[20:23], 0 offen lds               // 00000000BB3C: E0511000 80050030
	s_add_u32 m0, 0x300, s48                                   // 00000000BB44: 807C30FF 00000300
	v_mfma_f32_16x16x32_fp8_fp8 v[8:11], a[130:131], a[50:51], v[8:11]// 00000000BB4C: D3F30008 1C226582
	v_mfma_f32_16x16x32_fp8_fp8 v[8:11], a[132:133], a[52:53], v[8:11]// 00000000BB54: D3F30008 1C226984
	buffer_load_dword v49, s[20:23], 0 offen lds               // 00000000BB5C: E0511000 80050031
	s_add_u32 m0, 0x400, s48                                   // 00000000BB64: 807C30FF 00000400
	v_mfma_f32_16x16x32_fp8_fp8 v[8:11], a[134:135], a[54:55], v[8:11]// 00000000BB6C: D3F30008 1C226D86
	v_fma_f32 v112, v12, v6, v112                              // 00000000BB74: D1CB0070 05C20D0C
	v_fma_f32 v113, v13, v6, v113                              // 00000000BB7C: D1CB0071 05C60D0D
	v_fma_f32 v114, v14, v6, v114                              // 00000000BB84: D1CB0072 05CA0D0E
	v_fma_f32 v115, v15, v6, v115                              // 00000000BB8C: D1CB0073 05CE0D0F
	v_mfma_f32_16x16x32_fp8_fp8 v[12:15], a[136:137], a[48:49], 0// 00000000BB94: D3F3000C 1A026188
	buffer_load_dword v50, s[20:23], 0 offen lds               // 00000000BB9C: E0511000 80050032
	s_add_u32 m0, 0x500, s48                                   // 00000000BBA4: 807C30FF 00000500
	v_mfma_f32_16x16x32_fp8_fp8 v[12:15], a[138:139], a[50:51], v[12:15]// 00000000BBAC: D3F3000C 1C32658A
	v_mfma_f32_16x16x32_fp8_fp8 v[12:15], a[140:141], a[52:53], v[12:15]// 00000000BBB4: D3F3000C 1C32698C
	buffer_load_dword v51, s[20:23], 0 offen lds               // 00000000BBBC: E0511000 80050033
	s_add_u32 m0, 0x600, s48                                   // 00000000BBC4: 807C30FF 00000600
	v_mfma_f32_16x16x32_fp8_fp8 v[12:15], a[142:143], a[54:55], v[12:15]// 00000000BBCC: D3F3000C 1C326D8E
	v_fma_f32 v68, v8, v4, v68                                 // 00000000BBD4: D1CB0044 05120908
	v_fma_f32 v69, v9, v4, v69                                 // 00000000BBDC: D1CB0045 05160909
	v_fma_f32 v70, v10, v4, v70                                // 00000000BBE4: D1CB0046 051A090A
	v_fma_f32 v71, v11, v4, v71                                // 00000000BBEC: D1CB0047 051E090B
	v_mul_f32_dpp v6, v25, v40 row_newbcast:1 row_mask:0xf bank_mask:0xf// 00000000BBF4: 0A0C50FA FF015119
	v_mfma_f32_16x16x32_fp8_fp8 v[8:11], a[144:145], a[48:49], 0// 00000000BBFC: D3F30008 1A026190
	buffer_load_dword v52, s[20:23], 0 offen lds               // 00000000BC04: E0511000 80050034
	s_add_u32 m0, 0x700, s48                                   // 00000000BC0C: 807C30FF 00000700
	v_mfma_f32_16x16x32_fp8_fp8 v[8:11], a[146:147], a[50:51], v[8:11]// 00000000BC14: D3F30008 1C226592
	v_mfma_f32_16x16x32_fp8_fp8 v[8:11], a[148:149], a[52:53], v[8:11]// 00000000BC1C: D3F30008 1C226994
	buffer_load_dword v53, s[20:23], 0 offen lds               // 00000000BC24: E0511000 80050035
	s_add_u32 m0, 0, s49                                       // 00000000BC2C: 807C3180
	v_mfma_f32_16x16x32_fp8_fp8 v[8:11], a[150:151], a[54:55], v[8:11]// 00000000BC30: D3F30008 1C226D96
	v_fma_f32 v84, v12, v4, v84                                // 00000000BC38: D1CB0054 0552090C
	v_fma_f32 v85, v13, v4, v85                                // 00000000BC40: D1CB0055 0556090D
	v_fma_f32 v86, v14, v4, v86                                // 00000000BC48: D1CB0056 055A090E
	v_fma_f32 v87, v15, v4, v87                                // 00000000BC50: D1CB0057 055E090F
	v_mfma_f32_16x16x32_fp8_fp8 v[12:15], a[152:153], a[48:49], 0// 00000000BC58: D3F3000C 1A026198
	buffer_load_dword v34, v30, s[28:31], 0 offen              // 00000000BC60: E0501000 8007221E
	v_mfma_f32_16x16x32_fp8_fp8 v[12:15], a[154:155], a[50:51], v[12:15]// 00000000BC68: D3F3000C 1C32659A
	v_mfma_f32_16x16x32_fp8_fp8 v[12:15], a[156:157], a[52:53], v[12:15]// 00000000BC70: D3F3000C 1C32699C
	buffer_load_dword v35, v31, s[28:31], 0 offen              // 00000000BC78: E0501000 8007231F
	v_mfma_f32_16x16x32_fp8_fp8 v[12:15], a[158:159], a[54:55], v[12:15]// 00000000BC80: D3F3000C 1C326D9E
	v_fma_f32 v100, v8, v6, v100                               // 00000000BC88: D1CB0064 05920D08
	v_fma_f32 v101, v9, v6, v101                               // 00000000BC90: D1CB0065 05960D09
	v_fma_f32 v102, v10, v6, v102                              // 00000000BC98: D1CB0066 059A0D0A
	v_fma_f32 v103, v11, v6, v103                              // 00000000BCA0: D1CB0067 059E0D0B
	v_mul_f32_dpp v4, v25, v41 row_newbcast:0 row_mask:0xf bank_mask:0xf// 00000000BCA8: 0A0852FA FF015019
	v_mfma_f32_16x16x32_fp8_fp8 v[8:11], a[128:129], a[56:57], 0// 00000000BCB0: D3F30008 1A027180
	buffer_load_dword v36, v32, s[28:31], 0 offen              // 00000000BCB8: E0501000 80072420
	v_mfma_f32_16x16x32_fp8_fp8 v[8:11], a[130:131], a[58:59], v[8:11]// 00000000BCC0: D3F30008 1C227582
	v_mfma_f32_16x16x32_fp8_fp8 v[8:11], a[132:133], a[60:61], v[8:11]// 00000000BCC8: D3F30008 1C227984
	buffer_load_dword v37, v33, s[28:31], 0 offen              // 00000000BCD0: E0501000 80072521
	v_mfma_f32_16x16x32_fp8_fp8 v[8:11], a[134:135], a[62:63], v[8:11]// 00000000BCD8: D3F30008 1C227D86
	v_fma_f32 v116, v12, v6, v116                              // 00000000BCE0: D1CB0074 05D20D0C
	v_fma_f32 v117, v13, v6, v117                              // 00000000BCE8: D1CB0075 05D60D0D
	v_fma_f32 v118, v14, v6, v118                              // 00000000BCF0: D1CB0076 05DA0D0E
	v_fma_f32 v119, v15, v6, v119                              // 00000000BCF8: D1CB0077 05DE0D0F
	v_mfma_f32_16x16x32_fp8_fp8 v[12:15], a[136:137], a[56:57], 0// 00000000BD00: D3F3000C 1A027188
	v_mfma_f32_16x16x32_fp8_fp8 v[12:15], a[138:139], a[58:59], v[12:15]// 00000000BD08: D3F3000C 1C32758A
	v_mfma_f32_16x16x32_fp8_fp8 v[12:15], a[140:141], a[60:61], v[12:15]// 00000000BD10: D3F3000C 1C32798C
	v_mfma_f32_16x16x32_fp8_fp8 v[12:15], a[142:143], a[62:63], v[12:15]// 00000000BD18: D3F3000C 1C327D8E
	v_fma_f32 v72, v8, v4, v72                                 // 00000000BD20: D1CB0048 05220908
	v_fma_f32 v73, v9, v4, v73                                 // 00000000BD28: D1CB0049 05260909
	v_fma_f32 v74, v10, v4, v74                                // 00000000BD30: D1CB004A 052A090A
	v_fma_f32 v75, v11, v4, v75                                // 00000000BD38: D1CB004B 052E090B
	v_mul_f32_dpp v6, v25, v41 row_newbcast:1 row_mask:0xf bank_mask:0xf// 00000000BD40: 0A0C52FA FF015119
	v_mfma_f32_16x16x32_fp8_fp8 v[8:11], a[144:145], a[56:57], 0// 00000000BD48: D3F30008 1A027190
	v_mfma_f32_16x16x32_fp8_fp8 v[8:11], a[146:147], a[58:59], v[8:11]// 00000000BD50: D3F30008 1C227592
	v_mfma_f32_16x16x32_fp8_fp8 v[8:11], a[148:149], a[60:61], v[8:11]// 00000000BD58: D3F30008 1C227994
	v_mfma_f32_16x16x32_fp8_fp8 v[8:11], a[150:151], a[62:63], v[8:11]// 00000000BD60: D3F30008 1C227D96
	v_fma_f32 v88, v12, v4, v88                                // 00000000BD68: D1CB0058 0562090C
	v_fma_f32 v89, v13, v4, v89                                // 00000000BD70: D1CB0059 0566090D
	v_fma_f32 v90, v14, v4, v90                                // 00000000BD78: D1CB005A 056A090E
	v_fma_f32 v91, v15, v4, v91                                // 00000000BD80: D1CB005B 056E090F
	v_mfma_f32_16x16x32_fp8_fp8 v[12:15], a[152:153], a[56:57], 0// 00000000BD88: D3F3000C 1A027198
	v_mfma_f32_16x16x32_fp8_fp8 v[12:15], a[154:155], a[58:59], v[12:15]// 00000000BD90: D3F3000C 1C32759A
	v_mfma_f32_16x16x32_fp8_fp8 v[12:15], a[156:157], a[60:61], v[12:15]// 00000000BD98: D3F3000C 1C32799C
	v_mfma_f32_16x16x32_fp8_fp8 v[12:15], a[158:159], a[62:63], v[12:15]// 00000000BDA0: D3F3000C 1C327D9E
	v_fma_f32 v104, v8, v6, v104                               // 00000000BDA8: D1CB0068 05A20D08
	v_fma_f32 v105, v9, v6, v105                               // 00000000BDB0: D1CB0069 05A60D09
	v_fma_f32 v106, v10, v6, v106                              // 00000000BDB8: D1CB006A 05AA0D0A
	v_fma_f32 v107, v11, v6, v107                              // 00000000BDC0: D1CB006B 05AE0D0B
	v_fma_f32 v120, v12, v6, v120                              // 00000000BDC8: D1CB0078 05E20D0C
	v_fma_f32 v121, v13, v6, v121                              // 00000000BDD0: D1CB0079 05E60D0D
	v_fma_f32 v122, v14, v6, v122                              // 00000000BDD8: D1CB007A 05EA0D0E
	v_fma_f32 v123, v15, v6, v123                              // 00000000BDE0: D1CB007B 05EE0D0F
	s_waitcnt vmcnt(21)                                        // 00000000BDE8: BF8C4F75
	s_barrier                                                  // 00000000BDEC: BF8A0000
	v_mul_f32_dpp v4, v28, v38 row_newbcast:0 row_mask:0xf bank_mask:0xf// 00000000BDF0: 0A084CFA FF01501C
	v_mfma_f32_16x16x32_fp8_fp8 v[8:11], a[64:65], a[32:33], 0 // 00000000BDF8: D3F30008 1A024140
	buffer_load_dword v29, v23, s[32:35], 0 offen              // 00000000BE00: E0501000 80081D17
	buffer_load_dwordx4 a[128:131], v54, s[84:87], 0 offen     // 00000000BE08: E05C1000 80958036
	v_mfma_f32_16x16x32_fp8_fp8 v[8:11], a[66:67], a[34:35], v[8:11]// 00000000BE10: D3F30008 1C224542
	v_mfma_f32_16x16x32_fp8_fp8 v[8:11], a[68:69], a[36:37], v[8:11]// 00000000BE18: D3F30008 1C224944
	ds_read_b128 a[0:3], v2 offset:16640                       // 00000000BE20: DBFE4100 00000002
	ds_read_b128 a[4:7], v2 offset:16704                       // 00000000BE28: DBFE4140 04000002
	v_mfma_f32_16x16x32_fp8_fp8 v[8:11], a[70:71], a[38:39], v[8:11]// 00000000BE30: D3F30008 1C224D46
	v_mfma_f32_16x16x32_fp8_fp8 v[12:15], a[72:73], a[32:33], 0// 00000000BE38: D3F3000C 1A024148
	buffer_load_dwordx4 a[132:135], v54, s[84:87], 0 offen offset:1024// 00000000BE40: E05C1400 80958436
	v_mfma_f32_16x16x32_fp8_fp8 v[12:15], a[74:75], a[34:35], v[12:15]// 00000000BE48: D3F3000C 1C32454A
	v_mfma_f32_16x16x32_fp8_fp8 v[12:15], a[76:77], a[36:37], v[12:15]// 00000000BE50: D3F3000C 1C32494C
	ds_read_b128 a[8:11], v2 offset:17152                      // 00000000BE58: DBFE4300 08000002
	ds_read_b128 a[12:15], v2 offset:17216                     // 00000000BE60: DBFE4340 0C000002
	v_mfma_f32_16x16x32_fp8_fp8 v[12:15], a[78:79], a[38:39], v[12:15]// 00000000BE68: D3F3000C 1C324D4E
	v_fma_f32 v124, v8, v4, v124                               // 00000000BE70: D1CB007C 05F20908
	v_fma_f32 v125, v9, v4, v125                               // 00000000BE78: D1CB007D 05F60909
	v_fma_f32 v126, v10, v4, v126                              // 00000000BE80: D1CB007E 05FA090A
	v_fma_f32 v127, v11, v4, v127                              // 00000000BE88: D1CB007F 05FE090B
	v_mul_f32_dpp v6, v28, v38 row_newbcast:1 row_mask:0xf bank_mask:0xf// 00000000BE90: 0A0C4CFA FF01511C
	v_mfma_f32_16x16x32_fp8_fp8 v[8:11], a[80:81], a[32:33], 0 // 00000000BE98: D3F30008 1A024150
	buffer_load_dwordx4 a[136:139], v55, s[84:87], 0 offen     // 00000000BEA0: E05C1000 80958837
	v_mfma_f32_16x16x32_fp8_fp8 v[8:11], a[82:83], a[34:35], v[8:11]// 00000000BEA8: D3F30008 1C224552
	v_mfma_f32_16x16x32_fp8_fp8 v[8:11], a[84:85], a[36:37], v[8:11]// 00000000BEB0: D3F30008 1C224954
	ds_read_b128 a[16:19], v2 offset:17664                     // 00000000BEB8: DBFE4500 10000002
	ds_read_b128 a[20:23], v2 offset:17728                     // 00000000BEC0: DBFE4540 14000002
	v_mfma_f32_16x16x32_fp8_fp8 v[8:11], a[86:87], a[38:39], v[8:11]// 00000000BEC8: D3F30008 1C224D56
	v_fma_f32 v140, v12, v4, v140                              // 00000000BED0: D1CB008C 0632090C
	v_fma_f32 v141, v13, v4, v141                              // 00000000BED8: D1CB008D 0636090D
	v_fma_f32 v142, v14, v4, v142                              // 00000000BEE0: D1CB008E 063A090E
	v_fma_f32 v143, v15, v4, v143                              // 00000000BEE8: D1CB008F 063E090F
	v_mfma_f32_16x16x32_fp8_fp8 v[12:15], a[88:89], a[32:33], 0// 00000000BEF0: D3F3000C 1A024158
	buffer_load_dwordx4 a[140:143], v55, s[84:87], 0 offen offset:1024// 00000000BEF8: E05C1400 80958C37
	v_mfma_f32_16x16x32_fp8_fp8 v[12:15], a[90:91], a[34:35], v[12:15]// 00000000BF00: D3F3000C 1C32455A
	v_mfma_f32_16x16x32_fp8_fp8 v[12:15], a[92:93], a[36:37], v[12:15]// 00000000BF08: D3F3000C 1C32495C
	ds_read_b128 a[24:27], v2 offset:18176                     // 00000000BF10: DBFE4700 18000002
	ds_read_b128 a[28:31], v2 offset:18240                     // 00000000BF18: DBFE4740 1C000002
	v_mfma_f32_16x16x32_fp8_fp8 v[12:15], a[94:95], a[38:39], v[12:15]// 00000000BF20: D3F3000C 1C324D5E
	v_fma_f32 v156, v8, v6, v156                               // 00000000BF28: D1CB009C 06720D08
	v_fma_f32 v157, v9, v6, v157                               // 00000000BF30: D1CB009D 06760D09
	v_fma_f32 v158, v10, v6, v158                              // 00000000BF38: D1CB009E 067A0D0A
	v_fma_f32 v159, v11, v6, v159                              // 00000000BF40: D1CB009F 067E0D0B
	v_mul_f32_dpp v4, v28, v39 row_newbcast:0 row_mask:0xf bank_mask:0xf// 00000000BF48: 0A084EFA FF01501C
	v_mfma_f32_16x16x32_fp8_fp8 v[8:11], a[64:65], a[40:41], 0 // 00000000BF50: D3F30008 1A025140
	buffer_load_dwordx4 a[144:147], v56, s[84:87], 0 offen     // 00000000BF58: E05C1000 80959038
	v_mfma_f32_16x16x32_fp8_fp8 v[8:11], a[66:67], a[42:43], v[8:11]// 00000000BF60: D3F30008 1C225542
	v_mfma_f32_16x16x32_fp8_fp8 v[8:11], a[68:69], a[44:45], v[8:11]// 00000000BF68: D3F30008 1C225944
	v_mfma_f32_16x16x32_fp8_fp8 v[8:11], a[70:71], a[46:47], v[8:11]// 00000000BF70: D3F30008 1C225D46
	v_fma_f32 v172, v12, v6, v172                              // 00000000BF78: D1CB00AC 06B20D0C
	v_fma_f32 v173, v13, v6, v173                              // 00000000BF80: D1CB00AD 06B60D0D
	v_fma_f32 v174, v14, v6, v174                              // 00000000BF88: D1CB00AE 06BA0D0E
	v_fma_f32 v175, v15, v6, v175                              // 00000000BF90: D1CB00AF 06BE0D0F
	v_mfma_f32_16x16x32_fp8_fp8 v[12:15], a[72:73], a[40:41], 0// 00000000BF98: D3F3000C 1A025148
	buffer_load_dwordx4 a[148:151], v56, s[84:87], 0 offen offset:1024// 00000000BFA0: E05C1400 80959438
	v_mfma_f32_16x16x32_fp8_fp8 v[12:15], a[74:75], a[42:43], v[12:15]// 00000000BFA8: D3F3000C 1C32554A
	v_mfma_f32_16x16x32_fp8_fp8 v[12:15], a[76:77], a[44:45], v[12:15]// 00000000BFB0: D3F3000C 1C32594C
	v_mfma_f32_16x16x32_fp8_fp8 v[12:15], a[78:79], a[46:47], v[12:15]// 00000000BFB8: D3F3000C 1C325D4E
	v_fma_f32 v128, v8, v4, v128                               // 00000000BFC0: D1CB0080 06020908
	v_fma_f32 v129, v9, v4, v129                               // 00000000BFC8: D1CB0081 06060909
	v_fma_f32 v130, v10, v4, v130                              // 00000000BFD0: D1CB0082 060A090A
	v_fma_f32 v131, v11, v4, v131                              // 00000000BFD8: D1CB0083 060E090B
	v_mul_f32_dpp v6, v28, v39 row_newbcast:1 row_mask:0xf bank_mask:0xf// 00000000BFE0: 0A0C4EFA FF01511C
	v_mfma_f32_16x16x32_fp8_fp8 v[8:11], a[80:81], a[40:41], 0 // 00000000BFE8: D3F30008 1A025150
	buffer_load_dwordx4 a[152:155], v57, s[84:87], 0 offen     // 00000000BFF0: E05C1000 80959839
	v_mfma_f32_16x16x32_fp8_fp8 v[8:11], a[82:83], a[42:43], v[8:11]// 00000000BFF8: D3F30008 1C225552
	v_mfma_f32_16x16x32_fp8_fp8 v[8:11], a[84:85], a[44:45], v[8:11]// 00000000C000: D3F30008 1C225954
	v_mfma_f32_16x16x32_fp8_fp8 v[8:11], a[86:87], a[46:47], v[8:11]// 00000000C008: D3F30008 1C225D56
	v_fma_f32 v144, v12, v4, v144                              // 00000000C010: D1CB0090 0642090C
	v_fma_f32 v145, v13, v4, v145                              // 00000000C018: D1CB0091 0646090D
	v_fma_f32 v146, v14, v4, v146                              // 00000000C020: D1CB0092 064A090E
	v_fma_f32 v147, v15, v4, v147                              // 00000000C028: D1CB0093 064E090F
	v_mfma_f32_16x16x32_fp8_fp8 v[12:15], a[88:89], a[40:41], 0// 00000000C030: D3F3000C 1A025158
	buffer_load_dwordx4 a[156:159], v57, s[84:87], 0 offen offset:1024// 00000000C038: E05C1400 80959C39
	v_mfma_f32_16x16x32_fp8_fp8 v[12:15], a[90:91], a[42:43], v[12:15]// 00000000C040: D3F3000C 1C32555A
	v_mfma_f32_16x16x32_fp8_fp8 v[12:15], a[92:93], a[44:45], v[12:15]// 00000000C048: D3F3000C 1C32595C
	v_mfma_f32_16x16x32_fp8_fp8 v[12:15], a[94:95], a[46:47], v[12:15]// 00000000C050: D3F3000C 1C325D5E
	v_fma_f32 v160, v8, v6, v160                               // 00000000C058: D1CB00A0 06820D08
	v_fma_f32 v161, v9, v6, v161                               // 00000000C060: D1CB00A1 06860D09
	v_fma_f32 v162, v10, v6, v162                              // 00000000C068: D1CB00A2 068A0D0A
	v_fma_f32 v163, v11, v6, v163                              // 00000000C070: D1CB00A3 068E0D0B
	v_mul_f32_dpp v4, v28, v40 row_newbcast:0 row_mask:0xf bank_mask:0xf// 00000000C078: 0A0850FA FF01501C
	v_mfma_f32_16x16x32_fp8_fp8 v[8:11], a[64:65], a[48:49], 0 // 00000000C080: D3F30008 1A026140
	v_mfma_f32_16x16x32_fp8_fp8 v[8:11], a[66:67], a[50:51], v[8:11]// 00000000C088: D3F30008 1C226542
	v_mfma_f32_16x16x32_fp8_fp8 v[8:11], a[68:69], a[52:53], v[8:11]// 00000000C090: D3F30008 1C226944
	v_mfma_f32_16x16x32_fp8_fp8 v[8:11], a[70:71], a[54:55], v[8:11]// 00000000C098: D3F30008 1C226D46
	v_fma_f32 v176, v12, v6, v176                              // 00000000C0A0: D1CB00B0 06C20D0C
	v_fma_f32 v177, v13, v6, v177                              // 00000000C0A8: D1CB00B1 06C60D0D
	v_fma_f32 v178, v14, v6, v178                              // 00000000C0B0: D1CB00B2 06CA0D0E
	v_fma_f32 v179, v15, v6, v179                              // 00000000C0B8: D1CB00B3 06CE0D0F
	v_mfma_f32_16x16x32_fp8_fp8 v[12:15], a[72:73], a[48:49], 0// 00000000C0C0: D3F3000C 1A026148
	v_mfma_f32_16x16x32_fp8_fp8 v[12:15], a[74:75], a[50:51], v[12:15]// 00000000C0C8: D3F3000C 1C32654A
	v_mfma_f32_16x16x32_fp8_fp8 v[12:15], a[76:77], a[52:53], v[12:15]// 00000000C0D0: D3F3000C 1C32694C
	v_mfma_f32_16x16x32_fp8_fp8 v[12:15], a[78:79], a[54:55], v[12:15]// 00000000C0D8: D3F3000C 1C326D4E
	v_fma_f32 v132, v8, v4, v132                               // 00000000C0E0: D1CB0084 06120908
	v_fma_f32 v133, v9, v4, v133                               // 00000000C0E8: D1CB0085 06160909
	v_fma_f32 v134, v10, v4, v134                              // 00000000C0F0: D1CB0086 061A090A
	v_fma_f32 v135, v11, v4, v135                              // 00000000C0F8: D1CB0087 061E090B
	v_mul_f32_dpp v6, v28, v40 row_newbcast:1 row_mask:0xf bank_mask:0xf// 00000000C100: 0A0C50FA FF01511C
	v_mfma_f32_16x16x32_fp8_fp8 v[8:11], a[80:81], a[48:49], 0 // 00000000C108: D3F30008 1A026150
	v_mfma_f32_16x16x32_fp8_fp8 v[8:11], a[82:83], a[50:51], v[8:11]// 00000000C110: D3F30008 1C226552
	v_mfma_f32_16x16x32_fp8_fp8 v[8:11], a[84:85], a[52:53], v[8:11]// 00000000C118: D3F30008 1C226954
	v_mfma_f32_16x16x32_fp8_fp8 v[8:11], a[86:87], a[54:55], v[8:11]// 00000000C120: D3F30008 1C226D56
	v_fma_f32 v148, v12, v4, v148                              // 00000000C128: D1CB0094 0652090C
	v_fma_f32 v149, v13, v4, v149                              // 00000000C130: D1CB0095 0656090D
	v_fma_f32 v150, v14, v4, v150                              // 00000000C138: D1CB0096 065A090E
	v_fma_f32 v151, v15, v4, v151                              // 00000000C140: D1CB0097 065E090F
	v_mfma_f32_16x16x32_fp8_fp8 v[12:15], a[88:89], a[48:49], 0// 00000000C148: D3F3000C 1A026158
	v_mfma_f32_16x16x32_fp8_fp8 v[12:15], a[90:91], a[50:51], v[12:15]// 00000000C150: D3F3000C 1C32655A
	v_mfma_f32_16x16x32_fp8_fp8 v[12:15], a[92:93], a[52:53], v[12:15]// 00000000C158: D3F3000C 1C32695C
	v_mfma_f32_16x16x32_fp8_fp8 v[12:15], a[94:95], a[54:55], v[12:15]// 00000000C160: D3F3000C 1C326D5E
	v_fma_f32 v164, v8, v6, v164                               // 00000000C168: D1CB00A4 06920D08
	v_fma_f32 v165, v9, v6, v165                               // 00000000C170: D1CB00A5 06960D09
	v_fma_f32 v166, v10, v6, v166                              // 00000000C178: D1CB00A6 069A0D0A
	v_fma_f32 v167, v11, v6, v167                              // 00000000C180: D1CB00A7 069E0D0B
	v_mul_f32_dpp v4, v28, v41 row_newbcast:0 row_mask:0xf bank_mask:0xf// 00000000C188: 0A0852FA FF01501C
	v_mfma_f32_16x16x32_fp8_fp8 v[8:11], a[64:65], a[56:57], 0 // 00000000C190: D3F30008 1A027140
	v_mfma_f32_16x16x32_fp8_fp8 v[8:11], a[66:67], a[58:59], v[8:11]// 00000000C198: D3F30008 1C227542
	v_mfma_f32_16x16x32_fp8_fp8 v[8:11], a[68:69], a[60:61], v[8:11]// 00000000C1A0: D3F30008 1C227944
	v_mfma_f32_16x16x32_fp8_fp8 v[8:11], a[70:71], a[62:63], v[8:11]// 00000000C1A8: D3F30008 1C227D46
	v_fma_f32 v180, v12, v6, v180                              // 00000000C1B0: D1CB00B4 06D20D0C
	v_fma_f32 v181, v13, v6, v181                              // 00000000C1B8: D1CB00B5 06D60D0D
	v_fma_f32 v182, v14, v6, v182                              // 00000000C1C0: D1CB00B6 06DA0D0E
	v_fma_f32 v183, v15, v6, v183                              // 00000000C1C8: D1CB00B7 06DE0D0F
	v_mfma_f32_16x16x32_fp8_fp8 v[12:15], a[72:73], a[56:57], 0// 00000000C1D0: D3F3000C 1A027148
	v_mfma_f32_16x16x32_fp8_fp8 v[12:15], a[74:75], a[58:59], v[12:15]// 00000000C1D8: D3F3000C 1C32754A
	v_mfma_f32_16x16x32_fp8_fp8 v[12:15], a[76:77], a[60:61], v[12:15]// 00000000C1E0: D3F3000C 1C32794C
	v_mfma_f32_16x16x32_fp8_fp8 v[12:15], a[78:79], a[62:63], v[12:15]// 00000000C1E8: D3F3000C 1C327D4E
	v_fma_f32 v136, v8, v4, v136                               // 00000000C1F0: D1CB0088 06220908
	v_fma_f32 v137, v9, v4, v137                               // 00000000C1F8: D1CB0089 06260909
	v_fma_f32 v138, v10, v4, v138                              // 00000000C200: D1CB008A 062A090A
	v_fma_f32 v139, v11, v4, v139                              // 00000000C208: D1CB008B 062E090B
	v_mul_f32_dpp v6, v28, v41 row_newbcast:1 row_mask:0xf bank_mask:0xf// 00000000C210: 0A0C52FA FF01511C
	v_mfma_f32_16x16x32_fp8_fp8 v[8:11], a[80:81], a[56:57], 0 // 00000000C218: D3F30008 1A027150
	s_add_u32 s60, 0x180, s80                                  // 00000000C220: 803C50FF 00000180
	s_cmp_lt_u32 s60, s81                                      // 00000000C228: BF0A513C
	s_cselect_b32 s57, s57, 0                                  // 00000000C22C: 85398039
	s_cselect_b32 s3, s3, 0                                    // 00000000C230: 85038003
	v_mfma_f32_16x16x32_fp8_fp8 v[8:11], a[82:83], a[58:59], v[8:11]// 00000000C234: D3F30008 1C227552
	s_add_u32 s60, 0x100, s80                                  // 00000000C23C: 803C50FF 00000100
	s_cmp_lt_u32 s60, s81                                      // 00000000C244: BF0A513C
	s_cselect_b32 s58, s58, 0                                  // 00000000C248: 853A803A
	v_mfma_f32_16x16x32_fp8_fp8 v[8:11], a[84:85], a[60:61], v[8:11]// 00000000C24C: D3F30008 1C227954
	s_add_u32 s60, 0x100, s80                                  // 00000000C254: 803C50FF 00000100
	s_cmp_lt_u32 s60, s81                                      // 00000000C25C: BF0A513C
	s_cselect_b32 s83, s83, 0                                  // 00000000C260: 85538053
	s_cselect_b32 s4, s4, 0                                    // 00000000C264: 85048004
	v_mfma_f32_16x16x32_fp8_fp8 v[8:11], a[86:87], a[62:63], v[8:11]// 00000000C268: D3F30008 1C227D56
	s_add_u32 s24, s58, s24                                    // 00000000C270: 8018183A
	s_addc_u32 s25, 0, s25                                     // 00000000C274: 82191980
	v_fma_f32 v152, v12, v4, v152                              // 00000000C278: D1CB0098 0662090C
	v_fma_f32 v153, v13, v4, v153                              // 00000000C280: D1CB0099 0666090D
	v_fma_f32 v154, v14, v4, v154                              // 00000000C288: D1CB009A 066A090E
	v_fma_f32 v155, v15, v4, v155                              // 00000000C290: D1CB009B 066E090F
	v_mfma_f32_16x16x32_fp8_fp8 v[12:15], a[88:89], a[56:57], 0// 00000000C298: D3F3000C 1A027158
	s_add_u32 s20, s57, s20                                    // 00000000C2A0: 80141439
	s_addc_u32 s21, 0, s21                                     // 00000000C2A4: 82151580
	s_add_u32 s28, s3, s28                                     // 00000000C2A8: 801C1C03
	s_addc_u32 s29, 0, s29                                     // 00000000C2AC: 821D1D80
	v_mfma_f32_16x16x32_fp8_fp8 v[12:15], a[90:91], a[58:59], v[12:15]// 00000000C2B0: D3F3000C 1C32755A
	s_add_u32 s84, s83, s84                                    // 00000000C2B8: 80545453
	s_addc_u32 s85, 0, s85                                     // 00000000C2BC: 82555580
	v_mfma_f32_16x16x32_fp8_fp8 v[12:15], a[92:93], a[60:61], v[12:15]// 00000000C2C0: D3F3000C 1C32795C
	s_add_u32 s32, s4, s32                                     // 00000000C2C8: 80202004
	s_addc_u32 s33, 0, s33                                     // 00000000C2CC: 82212180
	v_mfma_f32_16x16x32_fp8_fp8 v[12:15], a[94:95], a[62:63], v[12:15]// 00000000C2D0: D3F3000C 1C327D5E
	v_fma_f32 v168, v8, v6, v168                               // 00000000C2D8: D1CB00A8 06A20D08
	v_fma_f32 v169, v9, v6, v169                               // 00000000C2E0: D1CB00A9 06A60D09
	v_fma_f32 v170, v10, v6, v170                              // 00000000C2E8: D1CB00AA 06AA0D0A
	v_fma_f32 v171, v11, v6, v171                              // 00000000C2F0: D1CB00AB 06AE0D0B
	v_fma_f32 v184, v12, v6, v184                              // 00000000C2F8: D1CB00B8 06E20D0C
	v_fma_f32 v185, v13, v6, v185                              // 00000000C300: D1CB00B9 06E60D0D
	v_fma_f32 v186, v14, v6, v186                              // 00000000C308: D1CB00BA 06EA0D0E
	v_fma_f32 v187, v15, v6, v187                              // 00000000C310: D1CB00BB 06EE0D0F
	s_addk_i32 s80, 0x80                                       // 00000000C318: B7500080
	s_cmp_lt_i32 s80, s81                                      // 00000000C31C: BF045150
	s_cbranch_scc0 label_30B1                                  // 00000000C320: BF840A65
	s_waitcnt vmcnt(21) lgkmcnt(0)                             // 00000000C324: BF8C4075
	v_mul_f32_dpp v4, v26, v42 row_newbcast:0 row_mask:0xf bank_mask:0xf// 00000000C328: 0A0854FA FF01501A
	v_mfma_f32_16x16x32_fp8_fp8 v[8:11], a[96:97], a[0:1], 0   // 00000000C330: D3F30008 1A020160
	buffer_load_dword v24, v22, s[32:35], 0 offen              // 00000000C338: E0501000 80081816
	buffer_load_dwordx4 a[64:67], v54, s[24:27], 0 offen       // 00000000C340: E05C1000 80864036
	v_mfma_f32_16x16x32_fp8_fp8 v[8:11], a[98:99], a[2:3], v[8:11]// 00000000C348: D3F30008 1C220562
	v_mfma_f32_16x16x32_fp8_fp8 v[8:11], a[100:101], a[4:5], v[8:11]// 00000000C350: D3F30008 1C220964
	v_mfma_f32_16x16x32_fp8_fp8 v[8:11], a[102:103], a[6:7], v[8:11]// 00000000C358: D3F30008 1C220D66
	v_mfma_f32_16x16x32_fp8_fp8 v[12:15], a[104:105], a[0:1], 0// 00000000C360: D3F3000C 1A020168
	buffer_load_dwordx4 a[68:71], v54, s[24:27], 0 offen offset:1024// 00000000C368: E05C1400 80864436
	v_mfma_f32_16x16x32_fp8_fp8 v[12:15], a[106:107], a[2:3], v[12:15]// 00000000C370: D3F3000C 1C32056A
	v_mfma_f32_16x16x32_fp8_fp8 v[12:15], a[108:109], a[4:5], v[12:15]// 00000000C378: D3F3000C 1C32096C
	v_mfma_f32_16x16x32_fp8_fp8 v[12:15], a[110:111], a[6:7], v[12:15]// 00000000C380: D3F3000C 1C320D6E
	v_fma_f32 v60, v8, v4, v60                                 // 00000000C388: D1CB003C 04F20908
	v_fma_f32 v61, v9, v4, v61                                 // 00000000C390: D1CB003D 04F60909
	v_fma_f32 v62, v10, v4, v62                                // 00000000C398: D1CB003E 04FA090A
	v_fma_f32 v63, v11, v4, v63                                // 00000000C3A0: D1CB003F 04FE090B
	v_mul_f32_dpp v6, v26, v42 row_newbcast:1 row_mask:0xf bank_mask:0xf// 00000000C3A8: 0A0C54FA FF01511A
	v_mfma_f32_16x16x32_fp8_fp8 v[8:11], a[112:113], a[0:1], 0 // 00000000C3B0: D3F30008 1A020170
	buffer_load_dwordx4 a[72:75], v55, s[24:27], 0 offen       // 00000000C3B8: E05C1000 80864837
	v_mfma_f32_16x16x32_fp8_fp8 v[8:11], a[114:115], a[2:3], v[8:11]// 00000000C3C0: D3F30008 1C220572
	v_mfma_f32_16x16x32_fp8_fp8 v[8:11], a[116:117], a[4:5], v[8:11]// 00000000C3C8: D3F30008 1C220974
	v_mfma_f32_16x16x32_fp8_fp8 v[8:11], a[118:119], a[6:7], v[8:11]// 00000000C3D0: D3F30008 1C220D76
	v_fma_f32 v76, v12, v4, v76                                // 00000000C3D8: D1CB004C 0532090C
	v_fma_f32 v77, v13, v4, v77                                // 00000000C3E0: D1CB004D 0536090D
	v_fma_f32 v78, v14, v4, v78                                // 00000000C3E8: D1CB004E 053A090E
	v_fma_f32 v79, v15, v4, v79                                // 00000000C3F0: D1CB004F 053E090F
	v_mfma_f32_16x16x32_fp8_fp8 v[12:15], a[120:121], a[0:1], 0// 00000000C3F8: D3F3000C 1A020178
	buffer_load_dwordx4 a[76:79], v55, s[24:27], 0 offen offset:1024// 00000000C400: E05C1400 80864C37
	v_mfma_f32_16x16x32_fp8_fp8 v[12:15], a[122:123], a[2:3], v[12:15]// 00000000C408: D3F3000C 1C32057A
	v_mfma_f32_16x16x32_fp8_fp8 v[12:15], a[124:125], a[4:5], v[12:15]// 00000000C410: D3F3000C 1C32097C
	v_mfma_f32_16x16x32_fp8_fp8 v[12:15], a[126:127], a[6:7], v[12:15]// 00000000C418: D3F3000C 1C320D7E
	v_fma_f32 v92, v8, v6, v92                                 // 00000000C420: D1CB005C 05720D08
	v_fma_f32 v93, v9, v6, v93                                 // 00000000C428: D1CB005D 05760D09
	v_fma_f32 v94, v10, v6, v94                                // 00000000C430: D1CB005E 057A0D0A
	v_fma_f32 v95, v11, v6, v95                                // 00000000C438: D1CB005F 057E0D0B
	v_mul_f32_dpp v4, v26, v43 row_newbcast:0 row_mask:0xf bank_mask:0xf// 00000000C440: 0A0856FA FF01501A
	v_mfma_f32_16x16x32_fp8_fp8 v[8:11], a[96:97], a[8:9], 0   // 00000000C448: D3F30008 1A021160
	buffer_load_dwordx4 a[80:83], v56, s[24:27], 0 offen       // 00000000C450: E05C1000 80865038
	v_mfma_f32_16x16x32_fp8_fp8 v[8:11], a[98:99], a[10:11], v[8:11]// 00000000C458: D3F30008 1C221562
	v_mfma_f32_16x16x32_fp8_fp8 v[8:11], a[100:101], a[12:13], v[8:11]// 00000000C460: D3F30008 1C221964
	v_mfma_f32_16x16x32_fp8_fp8 v[8:11], a[102:103], a[14:15], v[8:11]// 00000000C468: D3F30008 1C221D66
	v_fma_f32 v108, v12, v6, v108                              // 00000000C470: D1CB006C 05B20D0C
	v_fma_f32 v109, v13, v6, v109                              // 00000000C478: D1CB006D 05B60D0D
	v_fma_f32 v110, v14, v6, v110                              // 00000000C480: D1CB006E 05BA0D0E
	v_fma_f32 v111, v15, v6, v111                              // 00000000C488: D1CB006F 05BE0D0F
	v_mfma_f32_16x16x32_fp8_fp8 v[12:15], a[104:105], a[8:9], 0// 00000000C490: D3F3000C 1A021168
	buffer_load_dwordx4 a[84:87], v56, s[24:27], 0 offen offset:1024// 00000000C498: E05C1400 80865438
	v_mfma_f32_16x16x32_fp8_fp8 v[12:15], a[106:107], a[10:11], v[12:15]// 00000000C4A0: D3F3000C 1C32156A
	v_mfma_f32_16x16x32_fp8_fp8 v[12:15], a[108:109], a[12:13], v[12:15]// 00000000C4A8: D3F3000C 1C32196C
	v_mfma_f32_16x16x32_fp8_fp8 v[12:15], a[110:111], a[14:15], v[12:15]// 00000000C4B0: D3F3000C 1C321D6E
	v_fma_f32 v64, v8, v4, v64                                 // 00000000C4B8: D1CB0040 05020908
	v_fma_f32 v65, v9, v4, v65                                 // 00000000C4C0: D1CB0041 05060909
	v_fma_f32 v66, v10, v4, v66                                // 00000000C4C8: D1CB0042 050A090A
	v_fma_f32 v67, v11, v4, v67                                // 00000000C4D0: D1CB0043 050E090B
	v_mul_f32_dpp v6, v26, v43 row_newbcast:1 row_mask:0xf bank_mask:0xf// 00000000C4D8: 0A0C56FA FF01511A
	v_mfma_f32_16x16x32_fp8_fp8 v[8:11], a[112:113], a[8:9], 0 // 00000000C4E0: D3F30008 1A021170
	buffer_load_dwordx4 a[88:91], v57, s[24:27], 0 offen       // 00000000C4E8: E05C1000 80865839
	v_mfma_f32_16x16x32_fp8_fp8 v[8:11], a[114:115], a[10:11], v[8:11]// 00000000C4F0: D3F30008 1C221572
	v_mfma_f32_16x16x32_fp8_fp8 v[8:11], a[116:117], a[12:13], v[8:11]// 00000000C4F8: D3F30008 1C221974
	v_mfma_f32_16x16x32_fp8_fp8 v[8:11], a[118:119], a[14:15], v[8:11]// 00000000C500: D3F30008 1C221D76
	v_fma_f32 v80, v12, v4, v80                                // 00000000C508: D1CB0050 0542090C
	v_fma_f32 v81, v13, v4, v81                                // 00000000C510: D1CB0051 0546090D
	v_fma_f32 v82, v14, v4, v82                                // 00000000C518: D1CB0052 054A090E
	v_fma_f32 v83, v15, v4, v83                                // 00000000C520: D1CB0053 054E090F
	v_mfma_f32_16x16x32_fp8_fp8 v[12:15], a[120:121], a[8:9], 0// 00000000C528: D3F3000C 1A021178
	buffer_load_dwordx4 a[92:95], v57, s[24:27], 0 offen offset:1024// 00000000C530: E05C1400 80865C39
	buffer_load_dword v46, s[20:23], 0 offen lds               // 00000000C538: E0511000 8005002E
	s_add_u32 m0, 0x100, s49                                   // 00000000C540: 807C31FF 00000100
	v_mfma_f32_16x16x32_fp8_fp8 v[12:15], a[122:123], a[10:11], v[12:15]// 00000000C548: D3F3000C 1C32157A
	v_mfma_f32_16x16x32_fp8_fp8 v[12:15], a[124:125], a[12:13], v[12:15]// 00000000C550: D3F3000C 1C32197C
	buffer_load_dword v47, s[20:23], 0 offen lds               // 00000000C558: E0511000 8005002F
	s_add_u32 m0, 0x200, s49                                   // 00000000C560: 807C31FF 00000200
	v_mfma_f32_16x16x32_fp8_fp8 v[12:15], a[126:127], a[14:15], v[12:15]// 00000000C568: D3F3000C 1C321D7E
	v_fma_f32 v96, v8, v6, v96                                 // 00000000C570: D1CB0060 05820D08
	v_fma_f32 v97, v9, v6, v97                                 // 00000000C578: D1CB0061 05860D09
	v_fma_f32 v98, v10, v6, v98                                // 00000000C580: D1CB0062 058A0D0A
	v_fma_f32 v99, v11, v6, v99                                // 00000000C588: D1CB0063 058E0D0B
	v_mul_f32_dpp v4, v26, v44 row_newbcast:0 row_mask:0xf bank_mask:0xf// 00000000C590: 0A0858FA FF01501A
	v_mfma_f32_16x16x32_fp8_fp8 v[8:11], a[96:97], a[16:17], 0 // 00000000C598: D3F30008 1A022160
	buffer_load_dword v48, s[20:23], 0 offen lds               // 00000000C5A0: E0511000 80050030
	s_add_u32 m0, 0x300, s49                                   // 00000000C5A8: 807C31FF 00000300
	v_mfma_f32_16x16x32_fp8_fp8 v[8:11], a[98:99], a[18:19], v[8:11]// 00000000C5B0: D3F30008 1C222562
	v_mfma_f32_16x16x32_fp8_fp8 v[8:11], a[100:101], a[20:21], v[8:11]// 00000000C5B8: D3F30008 1C222964
	buffer_load_dword v49, s[20:23], 0 offen lds               // 00000000C5C0: E0511000 80050031
	s_add_u32 m0, 0x400, s49                                   // 00000000C5C8: 807C31FF 00000400
	v_mfma_f32_16x16x32_fp8_fp8 v[8:11], a[102:103], a[22:23], v[8:11]// 00000000C5D0: D3F30008 1C222D66
	v_fma_f32 v112, v12, v6, v112                              // 00000000C5D8: D1CB0070 05C20D0C
	v_fma_f32 v113, v13, v6, v113                              // 00000000C5E0: D1CB0071 05C60D0D
	v_fma_f32 v114, v14, v6, v114                              // 00000000C5E8: D1CB0072 05CA0D0E
	v_fma_f32 v115, v15, v6, v115                              // 00000000C5F0: D1CB0073 05CE0D0F
	v_mfma_f32_16x16x32_fp8_fp8 v[12:15], a[104:105], a[16:17], 0// 00000000C5F8: D3F3000C 1A022168
	buffer_load_dword v50, s[20:23], 0 offen lds               // 00000000C600: E0511000 80050032
	s_add_u32 m0, 0x500, s49                                   // 00000000C608: 807C31FF 00000500
	v_mfma_f32_16x16x32_fp8_fp8 v[12:15], a[106:107], a[18:19], v[12:15]// 00000000C610: D3F3000C 1C32256A
	v_mfma_f32_16x16x32_fp8_fp8 v[12:15], a[108:109], a[20:21], v[12:15]// 00000000C618: D3F3000C 1C32296C
	buffer_load_dword v51, s[20:23], 0 offen lds               // 00000000C620: E0511000 80050033
	s_add_u32 m0, 0x600, s49                                   // 00000000C628: 807C31FF 00000600
	v_mfma_f32_16x16x32_fp8_fp8 v[12:15], a[110:111], a[22:23], v[12:15]// 00000000C630: D3F3000C 1C322D6E
	v_fma_f32 v68, v8, v4, v68                                 // 00000000C638: D1CB0044 05120908
	v_fma_f32 v69, v9, v4, v69                                 // 00000000C640: D1CB0045 05160909
	v_fma_f32 v70, v10, v4, v70                                // 00000000C648: D1CB0046 051A090A
	v_fma_f32 v71, v11, v4, v71                                // 00000000C650: D1CB0047 051E090B
	v_mul_f32_dpp v6, v26, v44 row_newbcast:1 row_mask:0xf bank_mask:0xf// 00000000C658: 0A0C58FA FF01511A
	v_mfma_f32_16x16x32_fp8_fp8 v[8:11], a[112:113], a[16:17], 0// 00000000C660: D3F30008 1A022170
	buffer_load_dword v52, s[20:23], 0 offen lds               // 00000000C668: E0511000 80050034
	s_add_u32 m0, 0x700, s49                                   // 00000000C670: 807C31FF 00000700
	v_mfma_f32_16x16x32_fp8_fp8 v[8:11], a[114:115], a[18:19], v[8:11]// 00000000C678: D3F30008 1C222572
	v_mfma_f32_16x16x32_fp8_fp8 v[8:11], a[116:117], a[20:21], v[8:11]// 00000000C680: D3F30008 1C222974
	buffer_load_dword v53, s[20:23], 0 offen lds               // 00000000C688: E0511000 80050035
	s_add_u32 m0, 0, s50                                       // 00000000C690: 807C3280
	v_mfma_f32_16x16x32_fp8_fp8 v[8:11], a[118:119], a[22:23], v[8:11]// 00000000C694: D3F30008 1C222D76
	v_fma_f32 v84, v12, v4, v84                                // 00000000C69C: D1CB0054 0552090C
	v_fma_f32 v85, v13, v4, v85                                // 00000000C6A4: D1CB0055 0556090D
	v_fma_f32 v86, v14, v4, v86                                // 00000000C6AC: D1CB0056 055A090E
	v_fma_f32 v87, v15, v4, v87                                // 00000000C6B4: D1CB0057 055E090F
	v_mfma_f32_16x16x32_fp8_fp8 v[12:15], a[120:121], a[16:17], 0// 00000000C6BC: D3F3000C 1A022178
	buffer_load_dword v38, v30, s[28:31], 0 offen              // 00000000C6C4: E0501000 8007261E
	v_mfma_f32_16x16x32_fp8_fp8 v[12:15], a[122:123], a[18:19], v[12:15]// 00000000C6CC: D3F3000C 1C32257A
	v_mfma_f32_16x16x32_fp8_fp8 v[12:15], a[124:125], a[20:21], v[12:15]// 00000000C6D4: D3F3000C 1C32297C
	buffer_load_dword v39, v31, s[28:31], 0 offen              // 00000000C6DC: E0501000 8007271F
	v_mfma_f32_16x16x32_fp8_fp8 v[12:15], a[126:127], a[22:23], v[12:15]// 00000000C6E4: D3F3000C 1C322D7E
	v_fma_f32 v100, v8, v6, v100                               // 00000000C6EC: D1CB0064 05920D08
	v_fma_f32 v101, v9, v6, v101                               // 00000000C6F4: D1CB0065 05960D09
	v_fma_f32 v102, v10, v6, v102                              // 00000000C6FC: D1CB0066 059A0D0A
	v_fma_f32 v103, v11, v6, v103                              // 00000000C704: D1CB0067 059E0D0B
	v_mul_f32_dpp v4, v26, v45 row_newbcast:0 row_mask:0xf bank_mask:0xf// 00000000C70C: 0A085AFA FF01501A
	v_mfma_f32_16x16x32_fp8_fp8 v[8:11], a[96:97], a[24:25], 0 // 00000000C714: D3F30008 1A023160
	buffer_load_dword v40, v32, s[28:31], 0 offen              // 00000000C71C: E0501000 80072820
	v_mfma_f32_16x16x32_fp8_fp8 v[8:11], a[98:99], a[26:27], v[8:11]// 00000000C724: D3F30008 1C223562
	v_mfma_f32_16x16x32_fp8_fp8 v[8:11], a[100:101], a[28:29], v[8:11]// 00000000C72C: D3F30008 1C223964
	buffer_load_dword v41, v33, s[28:31], 0 offen              // 00000000C734: E0501000 80072921
	v_mfma_f32_16x16x32_fp8_fp8 v[8:11], a[102:103], a[30:31], v[8:11]// 00000000C73C: D3F30008 1C223D66
	v_fma_f32 v116, v12, v6, v116                              // 00000000C744: D1CB0074 05D20D0C
	v_fma_f32 v117, v13, v6, v117                              // 00000000C74C: D1CB0075 05D60D0D
	v_fma_f32 v118, v14, v6, v118                              // 00000000C754: D1CB0076 05DA0D0E
	v_fma_f32 v119, v15, v6, v119                              // 00000000C75C: D1CB0077 05DE0D0F
	v_mfma_f32_16x16x32_fp8_fp8 v[12:15], a[104:105], a[24:25], 0// 00000000C764: D3F3000C 1A023168
	v_mfma_f32_16x16x32_fp8_fp8 v[12:15], a[106:107], a[26:27], v[12:15]// 00000000C76C: D3F3000C 1C32356A
	v_mfma_f32_16x16x32_fp8_fp8 v[12:15], a[108:109], a[28:29], v[12:15]// 00000000C774: D3F3000C 1C32396C
	v_mfma_f32_16x16x32_fp8_fp8 v[12:15], a[110:111], a[30:31], v[12:15]// 00000000C77C: D3F3000C 1C323D6E
	v_fma_f32 v72, v8, v4, v72                                 // 00000000C784: D1CB0048 05220908
	v_fma_f32 v73, v9, v4, v73                                 // 00000000C78C: D1CB0049 05260909
	v_fma_f32 v74, v10, v4, v74                                // 00000000C794: D1CB004A 052A090A
	v_fma_f32 v75, v11, v4, v75                                // 00000000C79C: D1CB004B 052E090B
	v_mul_f32_dpp v6, v26, v45 row_newbcast:1 row_mask:0xf bank_mask:0xf// 00000000C7A4: 0A0C5AFA FF01511A
	v_mfma_f32_16x16x32_fp8_fp8 v[8:11], a[112:113], a[24:25], 0// 00000000C7AC: D3F30008 1A023170
	v_mfma_f32_16x16x32_fp8_fp8 v[8:11], a[114:115], a[26:27], v[8:11]// 00000000C7B4: D3F30008 1C223572
	v_mfma_f32_16x16x32_fp8_fp8 v[8:11], a[116:117], a[28:29], v[8:11]// 00000000C7BC: D3F30008 1C223974
	v_mfma_f32_16x16x32_fp8_fp8 v[8:11], a[118:119], a[30:31], v[8:11]// 00000000C7C4: D3F30008 1C223D76
	v_fma_f32 v88, v12, v4, v88                                // 00000000C7CC: D1CB0058 0562090C
	v_fma_f32 v89, v13, v4, v89                                // 00000000C7D4: D1CB0059 0566090D
	v_fma_f32 v90, v14, v4, v90                                // 00000000C7DC: D1CB005A 056A090E
	v_fma_f32 v91, v15, v4, v91                                // 00000000C7E4: D1CB005B 056E090F
	v_mfma_f32_16x16x32_fp8_fp8 v[12:15], a[120:121], a[24:25], 0// 00000000C7EC: D3F3000C 1A023178
	v_mfma_f32_16x16x32_fp8_fp8 v[12:15], a[122:123], a[26:27], v[12:15]// 00000000C7F4: D3F3000C 1C32357A
	v_mfma_f32_16x16x32_fp8_fp8 v[12:15], a[124:125], a[28:29], v[12:15]// 00000000C7FC: D3F3000C 1C32397C
	v_mfma_f32_16x16x32_fp8_fp8 v[12:15], a[126:127], a[30:31], v[12:15]// 00000000C804: D3F3000C 1C323D7E
	v_fma_f32 v104, v8, v6, v104                               // 00000000C80C: D1CB0068 05A20D08
	v_fma_f32 v105, v9, v6, v105                               // 00000000C814: D1CB0069 05A60D09
	v_fma_f32 v106, v10, v6, v106                              // 00000000C81C: D1CB006A 05AA0D0A
	v_fma_f32 v107, v11, v6, v107                              // 00000000C824: D1CB006B 05AE0D0B
	v_fma_f32 v120, v12, v6, v120                              // 00000000C82C: D1CB0078 05E20D0C
	v_fma_f32 v121, v13, v6, v121                              // 00000000C834: D1CB0079 05E60D0D
	v_fma_f32 v122, v14, v6, v122                              // 00000000C83C: D1CB007A 05EA0D0E
	v_fma_f32 v123, v15, v6, v123                              // 00000000C844: D1CB007B 05EE0D0F
	s_waitcnt vmcnt(21)                                        // 00000000C84C: BF8C4F75
	s_barrier                                                  // 00000000C850: BF8A0000
	v_mul_f32_dpp v4, v29, v42 row_newbcast:0 row_mask:0xf bank_mask:0xf// 00000000C854: 0A0854FA FF01501D
	v_mfma_f32_16x16x32_fp8_fp8 v[8:11], a[128:129], a[0:1], 0 // 00000000C85C: D3F30008 1A020180
	buffer_load_dword v27, v23, s[32:35], 0 offen              // 00000000C864: E0501000 80081B17
	buffer_load_dwordx4 a[96:99], v54, s[84:87], 0 offen       // 00000000C86C: E05C1000 80956036
	v_mfma_f32_16x16x32_fp8_fp8 v[8:11], a[130:131], a[2:3], v[8:11]// 00000000C874: D3F30008 1C220582
	v_mfma_f32_16x16x32_fp8_fp8 v[8:11], a[132:133], a[4:5], v[8:11]// 00000000C87C: D3F30008 1C220984
	ds_read_b128 a[32:35], v2                                  // 00000000C884: DBFE0000 20000002
	ds_read_b128 a[36:39], v2 offset:64                        // 00000000C88C: DBFE0040 24000002
	v_mfma_f32_16x16x32_fp8_fp8 v[8:11], a[134:135], a[6:7], v[8:11]// 00000000C894: D3F30008 1C220D86
	v_mfma_f32_16x16x32_fp8_fp8 v[12:15], a[136:137], a[0:1], 0// 00000000C89C: D3F3000C 1A020188
	buffer_load_dwordx4 a[100:103], v54, s[84:87], 0 offen offset:1024// 00000000C8A4: E05C1400 80956436
	v_mfma_f32_16x16x32_fp8_fp8 v[12:15], a[138:139], a[2:3], v[12:15]// 00000000C8AC: D3F3000C 1C32058A
	v_mfma_f32_16x16x32_fp8_fp8 v[12:15], a[140:141], a[4:5], v[12:15]// 00000000C8B4: D3F3000C 1C32098C
	ds_read_b128 a[40:43], v2 offset:512                       // 00000000C8BC: DBFE0200 28000002
	ds_read_b128 a[44:47], v2 offset:576                       // 00000000C8C4: DBFE0240 2C000002
	v_mfma_f32_16x16x32_fp8_fp8 v[12:15], a[142:143], a[6:7], v[12:15]// 00000000C8CC: D3F3000C 1C320D8E
	v_fma_f32 v124, v8, v4, v124                               // 00000000C8D4: D1CB007C 05F20908
	v_fma_f32 v125, v9, v4, v125                               // 00000000C8DC: D1CB007D 05F60909
	v_fma_f32 v126, v10, v4, v126                              // 00000000C8E4: D1CB007E 05FA090A
	v_fma_f32 v127, v11, v4, v127                              // 00000000C8EC: D1CB007F 05FE090B
	v_mul_f32_dpp v6, v29, v42 row_newbcast:1 row_mask:0xf bank_mask:0xf// 00000000C8F4: 0A0C54FA FF01511D
	v_mfma_f32_16x16x32_fp8_fp8 v[8:11], a[144:145], a[0:1], 0 // 00000000C8FC: D3F30008 1A020190
	buffer_load_dwordx4 a[104:107], v55, s[84:87], 0 offen     // 00000000C904: E05C1000 80956837
	v_mfma_f32_16x16x32_fp8_fp8 v[8:11], a[146:147], a[2:3], v[8:11]// 00000000C90C: D3F30008 1C220592
	v_mfma_f32_16x16x32_fp8_fp8 v[8:11], a[148:149], a[4:5], v[8:11]// 00000000C914: D3F30008 1C220994
	ds_read_b128 a[48:51], v2 offset:1024                      // 00000000C91C: DBFE0400 30000002
	ds_read_b128 a[52:55], v2 offset:1088                      // 00000000C924: DBFE0440 34000002
	v_mfma_f32_16x16x32_fp8_fp8 v[8:11], a[150:151], a[6:7], v[8:11]// 00000000C92C: D3F30008 1C220D96
	v_fma_f32 v140, v12, v4, v140                              // 00000000C934: D1CB008C 0632090C
	v_fma_f32 v141, v13, v4, v141                              // 00000000C93C: D1CB008D 0636090D
	v_fma_f32 v142, v14, v4, v142                              // 00000000C944: D1CB008E 063A090E
	v_fma_f32 v143, v15, v4, v143                              // 00000000C94C: D1CB008F 063E090F
	v_mfma_f32_16x16x32_fp8_fp8 v[12:15], a[152:153], a[0:1], 0// 00000000C954: D3F3000C 1A020198
	buffer_load_dwordx4 a[108:111], v55, s[84:87], 0 offen offset:1024// 00000000C95C: E05C1400 80956C37
	v_mfma_f32_16x16x32_fp8_fp8 v[12:15], a[154:155], a[2:3], v[12:15]// 00000000C964: D3F3000C 1C32059A
	v_mfma_f32_16x16x32_fp8_fp8 v[12:15], a[156:157], a[4:5], v[12:15]// 00000000C96C: D3F3000C 1C32099C
	ds_read_b128 a[56:59], v2 offset:1536                      // 00000000C974: DBFE0600 38000002
	ds_read_b128 a[60:63], v2 offset:1600                      // 00000000C97C: DBFE0640 3C000002
	v_mfma_f32_16x16x32_fp8_fp8 v[12:15], a[158:159], a[6:7], v[12:15]// 00000000C984: D3F3000C 1C320D9E
	v_fma_f32 v156, v8, v6, v156                               // 00000000C98C: D1CB009C 06720D08
	v_fma_f32 v157, v9, v6, v157                               // 00000000C994: D1CB009D 06760D09
	v_fma_f32 v158, v10, v6, v158                              // 00000000C99C: D1CB009E 067A0D0A
	v_fma_f32 v159, v11, v6, v159                              // 00000000C9A4: D1CB009F 067E0D0B
	v_mul_f32_dpp v4, v29, v43 row_newbcast:0 row_mask:0xf bank_mask:0xf// 00000000C9AC: 0A0856FA FF01501D
	v_mfma_f32_16x16x32_fp8_fp8 v[8:11], a[128:129], a[8:9], 0 // 00000000C9B4: D3F30008 1A021180
	buffer_load_dwordx4 a[112:115], v56, s[84:87], 0 offen     // 00000000C9BC: E05C1000 80957038
	v_mfma_f32_16x16x32_fp8_fp8 v[8:11], a[130:131], a[10:11], v[8:11]// 00000000C9C4: D3F30008 1C221582
	v_mfma_f32_16x16x32_fp8_fp8 v[8:11], a[132:133], a[12:13], v[8:11]// 00000000C9CC: D3F30008 1C221984
	v_mfma_f32_16x16x32_fp8_fp8 v[8:11], a[134:135], a[14:15], v[8:11]// 00000000C9D4: D3F30008 1C221D86
	v_fma_f32 v172, v12, v6, v172                              // 00000000C9DC: D1CB00AC 06B20D0C
	v_fma_f32 v173, v13, v6, v173                              // 00000000C9E4: D1CB00AD 06B60D0D
	v_fma_f32 v174, v14, v6, v174                              // 00000000C9EC: D1CB00AE 06BA0D0E
	v_fma_f32 v175, v15, v6, v175                              // 00000000C9F4: D1CB00AF 06BE0D0F
	v_mfma_f32_16x16x32_fp8_fp8 v[12:15], a[136:137], a[8:9], 0// 00000000C9FC: D3F3000C 1A021188
	buffer_load_dwordx4 a[116:119], v56, s[84:87], 0 offen offset:1024// 00000000CA04: E05C1400 80957438
	v_mfma_f32_16x16x32_fp8_fp8 v[12:15], a[138:139], a[10:11], v[12:15]// 00000000CA0C: D3F3000C 1C32158A
	v_mfma_f32_16x16x32_fp8_fp8 v[12:15], a[140:141], a[12:13], v[12:15]// 00000000CA14: D3F3000C 1C32198C
	v_mfma_f32_16x16x32_fp8_fp8 v[12:15], a[142:143], a[14:15], v[12:15]// 00000000CA1C: D3F3000C 1C321D8E
	v_fma_f32 v128, v8, v4, v128                               // 00000000CA24: D1CB0080 06020908
	v_fma_f32 v129, v9, v4, v129                               // 00000000CA2C: D1CB0081 06060909
	v_fma_f32 v130, v10, v4, v130                              // 00000000CA34: D1CB0082 060A090A
	v_fma_f32 v131, v11, v4, v131                              // 00000000CA3C: D1CB0083 060E090B
	v_mul_f32_dpp v6, v29, v43 row_newbcast:1 row_mask:0xf bank_mask:0xf// 00000000CA44: 0A0C56FA FF01511D
	v_mfma_f32_16x16x32_fp8_fp8 v[8:11], a[144:145], a[8:9], 0 // 00000000CA4C: D3F30008 1A021190
	buffer_load_dwordx4 a[120:123], v57, s[84:87], 0 offen     // 00000000CA54: E05C1000 80957839
	v_mfma_f32_16x16x32_fp8_fp8 v[8:11], a[146:147], a[10:11], v[8:11]// 00000000CA5C: D3F30008 1C221592
	v_mfma_f32_16x16x32_fp8_fp8 v[8:11], a[148:149], a[12:13], v[8:11]// 00000000CA64: D3F30008 1C221994
	v_mfma_f32_16x16x32_fp8_fp8 v[8:11], a[150:151], a[14:15], v[8:11]// 00000000CA6C: D3F30008 1C221D96
	v_fma_f32 v144, v12, v4, v144                              // 00000000CA74: D1CB0090 0642090C
	v_fma_f32 v145, v13, v4, v145                              // 00000000CA7C: D1CB0091 0646090D
	v_fma_f32 v146, v14, v4, v146                              // 00000000CA84: D1CB0092 064A090E
	v_fma_f32 v147, v15, v4, v147                              // 00000000CA8C: D1CB0093 064E090F
	v_mfma_f32_16x16x32_fp8_fp8 v[12:15], a[152:153], a[8:9], 0// 00000000CA94: D3F3000C 1A021198
	buffer_load_dwordx4 a[124:127], v57, s[84:87], 0 offen offset:1024// 00000000CA9C: E05C1400 80957C39
	v_mfma_f32_16x16x32_fp8_fp8 v[12:15], a[154:155], a[10:11], v[12:15]// 00000000CAA4: D3F3000C 1C32159A
	v_mfma_f32_16x16x32_fp8_fp8 v[12:15], a[156:157], a[12:13], v[12:15]// 00000000CAAC: D3F3000C 1C32199C
	v_mfma_f32_16x16x32_fp8_fp8 v[12:15], a[158:159], a[14:15], v[12:15]// 00000000CAB4: D3F3000C 1C321D9E
	v_fma_f32 v160, v8, v6, v160                               // 00000000CABC: D1CB00A0 06820D08
	v_fma_f32 v161, v9, v6, v161                               // 00000000CAC4: D1CB00A1 06860D09
	v_fma_f32 v162, v10, v6, v162                              // 00000000CACC: D1CB00A2 068A0D0A
	v_fma_f32 v163, v11, v6, v163                              // 00000000CAD4: D1CB00A3 068E0D0B
	v_mul_f32_dpp v4, v29, v44 row_newbcast:0 row_mask:0xf bank_mask:0xf// 00000000CADC: 0A0858FA FF01501D
	v_mfma_f32_16x16x32_fp8_fp8 v[8:11], a[128:129], a[16:17], 0// 00000000CAE4: D3F30008 1A022180
	v_mfma_f32_16x16x32_fp8_fp8 v[8:11], a[130:131], a[18:19], v[8:11]// 00000000CAEC: D3F30008 1C222582
	v_mfma_f32_16x16x32_fp8_fp8 v[8:11], a[132:133], a[20:21], v[8:11]// 00000000CAF4: D3F30008 1C222984
	v_mfma_f32_16x16x32_fp8_fp8 v[8:11], a[134:135], a[22:23], v[8:11]// 00000000CAFC: D3F30008 1C222D86
	v_fma_f32 v176, v12, v6, v176                              // 00000000CB04: D1CB00B0 06C20D0C
	v_fma_f32 v177, v13, v6, v177                              // 00000000CB0C: D1CB00B1 06C60D0D
	v_fma_f32 v178, v14, v6, v178                              // 00000000CB14: D1CB00B2 06CA0D0E
	v_fma_f32 v179, v15, v6, v179                              // 00000000CB1C: D1CB00B3 06CE0D0F
	v_mfma_f32_16x16x32_fp8_fp8 v[12:15], a[136:137], a[16:17], 0// 00000000CB24: D3F3000C 1A022188
	v_mfma_f32_16x16x32_fp8_fp8 v[12:15], a[138:139], a[18:19], v[12:15]// 00000000CB2C: D3F3000C 1C32258A
	v_mfma_f32_16x16x32_fp8_fp8 v[12:15], a[140:141], a[20:21], v[12:15]// 00000000CB34: D3F3000C 1C32298C
	v_mfma_f32_16x16x32_fp8_fp8 v[12:15], a[142:143], a[22:23], v[12:15]// 00000000CB3C: D3F3000C 1C322D8E
	v_fma_f32 v132, v8, v4, v132                               // 00000000CB44: D1CB0084 06120908
	v_fma_f32 v133, v9, v4, v133                               // 00000000CB4C: D1CB0085 06160909
	v_fma_f32 v134, v10, v4, v134                              // 00000000CB54: D1CB0086 061A090A
	v_fma_f32 v135, v11, v4, v135                              // 00000000CB5C: D1CB0087 061E090B
	v_mul_f32_dpp v6, v29, v44 row_newbcast:1 row_mask:0xf bank_mask:0xf// 00000000CB64: 0A0C58FA FF01511D
	v_mfma_f32_16x16x32_fp8_fp8 v[8:11], a[144:145], a[16:17], 0// 00000000CB6C: D3F30008 1A022190
	v_mfma_f32_16x16x32_fp8_fp8 v[8:11], a[146:147], a[18:19], v[8:11]// 00000000CB74: D3F30008 1C222592
	v_mfma_f32_16x16x32_fp8_fp8 v[8:11], a[148:149], a[20:21], v[8:11]// 00000000CB7C: D3F30008 1C222994
	v_mfma_f32_16x16x32_fp8_fp8 v[8:11], a[150:151], a[22:23], v[8:11]// 00000000CB84: D3F30008 1C222D96
	v_fma_f32 v148, v12, v4, v148                              // 00000000CB8C: D1CB0094 0652090C
	v_fma_f32 v149, v13, v4, v149                              // 00000000CB94: D1CB0095 0656090D
	v_fma_f32 v150, v14, v4, v150                              // 00000000CB9C: D1CB0096 065A090E
	v_fma_f32 v151, v15, v4, v151                              // 00000000CBA4: D1CB0097 065E090F
	v_mfma_f32_16x16x32_fp8_fp8 v[12:15], a[152:153], a[16:17], 0// 00000000CBAC: D3F3000C 1A022198
	v_mfma_f32_16x16x32_fp8_fp8 v[12:15], a[154:155], a[18:19], v[12:15]// 00000000CBB4: D3F3000C 1C32259A
	v_mfma_f32_16x16x32_fp8_fp8 v[12:15], a[156:157], a[20:21], v[12:15]// 00000000CBBC: D3F3000C 1C32299C
	v_mfma_f32_16x16x32_fp8_fp8 v[12:15], a[158:159], a[22:23], v[12:15]// 00000000CBC4: D3F3000C 1C322D9E
	v_fma_f32 v164, v8, v6, v164                               // 00000000CBCC: D1CB00A4 06920D08
	v_fma_f32 v165, v9, v6, v165                               // 00000000CBD4: D1CB00A5 06960D09
	v_fma_f32 v166, v10, v6, v166                              // 00000000CBDC: D1CB00A6 069A0D0A
	v_fma_f32 v167, v11, v6, v167                              // 00000000CBE4: D1CB00A7 069E0D0B
	v_mul_f32_dpp v4, v29, v45 row_newbcast:0 row_mask:0xf bank_mask:0xf// 00000000CBEC: 0A085AFA FF01501D
	v_mfma_f32_16x16x32_fp8_fp8 v[8:11], a[128:129], a[24:25], 0// 00000000CBF4: D3F30008 1A023180
	v_mfma_f32_16x16x32_fp8_fp8 v[8:11], a[130:131], a[26:27], v[8:11]// 00000000CBFC: D3F30008 1C223582
	v_mfma_f32_16x16x32_fp8_fp8 v[8:11], a[132:133], a[28:29], v[8:11]// 00000000CC04: D3F30008 1C223984
	v_mfma_f32_16x16x32_fp8_fp8 v[8:11], a[134:135], a[30:31], v[8:11]// 00000000CC0C: D3F30008 1C223D86
	v_fma_f32 v180, v12, v6, v180                              // 00000000CC14: D1CB00B4 06D20D0C
	v_fma_f32 v181, v13, v6, v181                              // 00000000CC1C: D1CB00B5 06D60D0D
	v_fma_f32 v182, v14, v6, v182                              // 00000000CC24: D1CB00B6 06DA0D0E
	v_fma_f32 v183, v15, v6, v183                              // 00000000CC2C: D1CB00B7 06DE0D0F
	v_mfma_f32_16x16x32_fp8_fp8 v[12:15], a[136:137], a[24:25], 0// 00000000CC34: D3F3000C 1A023188
	v_mfma_f32_16x16x32_fp8_fp8 v[12:15], a[138:139], a[26:27], v[12:15]// 00000000CC3C: D3F3000C 1C32358A
	v_mfma_f32_16x16x32_fp8_fp8 v[12:15], a[140:141], a[28:29], v[12:15]// 00000000CC44: D3F3000C 1C32398C
	v_mfma_f32_16x16x32_fp8_fp8 v[12:15], a[142:143], a[30:31], v[12:15]// 00000000CC4C: D3F3000C 1C323D8E
	v_fma_f32 v136, v8, v4, v136                               // 00000000CC54: D1CB0088 06220908
	v_fma_f32 v137, v9, v4, v137                               // 00000000CC5C: D1CB0089 06260909
	v_fma_f32 v138, v10, v4, v138                              // 00000000CC64: D1CB008A 062A090A
	v_fma_f32 v139, v11, v4, v139                              // 00000000CC6C: D1CB008B 062E090B
	v_mul_f32_dpp v6, v29, v45 row_newbcast:1 row_mask:0xf bank_mask:0xf// 00000000CC74: 0A0C5AFA FF01511D
	v_mfma_f32_16x16x32_fp8_fp8 v[8:11], a[144:145], a[24:25], 0// 00000000CC7C: D3F30008 1A023190
	s_add_u32 s60, 0x180, s80                                  // 00000000CC84: 803C50FF 00000180
	s_cmp_lt_u32 s60, s81                                      // 00000000CC8C: BF0A513C
	s_cselect_b32 s57, s57, 0                                  // 00000000CC90: 85398039
	s_cselect_b32 s3, s3, 0                                    // 00000000CC94: 85038003
	v_mfma_f32_16x16x32_fp8_fp8 v[8:11], a[146:147], a[26:27], v[8:11]// 00000000CC98: D3F30008 1C223592
	s_add_u32 s60, 0x100, s80                                  // 00000000CCA0: 803C50FF 00000100
	s_cmp_lt_u32 s60, s81                                      // 00000000CCA8: BF0A513C
	s_cselect_b32 s58, s58, 0                                  // 00000000CCAC: 853A803A
	v_mfma_f32_16x16x32_fp8_fp8 v[8:11], a[148:149], a[28:29], v[8:11]// 00000000CCB0: D3F30008 1C223994
	s_add_u32 s60, 0x100, s80                                  // 00000000CCB8: 803C50FF 00000100
	s_cmp_lt_u32 s60, s81                                      // 00000000CCC0: BF0A513C
	s_cselect_b32 s83, s83, 0                                  // 00000000CCC4: 85538053
	s_cselect_b32 s4, s4, 0                                    // 00000000CCC8: 85048004
	v_mfma_f32_16x16x32_fp8_fp8 v[8:11], a[150:151], a[30:31], v[8:11]// 00000000CCCC: D3F30008 1C223D96
	s_add_u32 s24, s58, s24                                    // 00000000CCD4: 8018183A
	s_addc_u32 s25, 0, s25                                     // 00000000CCD8: 82191980
	v_fma_f32 v152, v12, v4, v152                              // 00000000CCDC: D1CB0098 0662090C
	v_fma_f32 v153, v13, v4, v153                              // 00000000CCE4: D1CB0099 0666090D
	v_fma_f32 v154, v14, v4, v154                              // 00000000CCEC: D1CB009A 066A090E
	v_fma_f32 v155, v15, v4, v155                              // 00000000CCF4: D1CB009B 066E090F
	v_mfma_f32_16x16x32_fp8_fp8 v[12:15], a[152:153], a[24:25], 0// 00000000CCFC: D3F3000C 1A023198
	s_add_u32 s20, s57, s20                                    // 00000000CD04: 80141439
	s_addc_u32 s21, 0, s21                                     // 00000000CD08: 82151580
	s_add_u32 s28, s3, s28                                     // 00000000CD0C: 801C1C03
	s_addc_u32 s29, 0, s29                                     // 00000000CD10: 821D1D80
	v_mfma_f32_16x16x32_fp8_fp8 v[12:15], a[154:155], a[26:27], v[12:15]// 00000000CD14: D3F3000C 1C32359A
	s_add_u32 s84, s83, s84                                    // 00000000CD1C: 80545453
	s_addc_u32 s85, 0, s85                                     // 00000000CD20: 82555580
	v_mfma_f32_16x16x32_fp8_fp8 v[12:15], a[156:157], a[28:29], v[12:15]// 00000000CD24: D3F3000C 1C32399C
	s_add_u32 s32, s4, s32                                     // 00000000CD2C: 80202004
	s_addc_u32 s33, 0, s33                                     // 00000000CD30: 82212180
	v_mfma_f32_16x16x32_fp8_fp8 v[12:15], a[158:159], a[30:31], v[12:15]// 00000000CD34: D3F3000C 1C323D9E
	v_fma_f32 v168, v8, v6, v168                               // 00000000CD3C: D1CB00A8 06A20D08
	v_fma_f32 v169, v9, v6, v169                               // 00000000CD44: D1CB00A9 06A60D09
	v_fma_f32 v170, v10, v6, v170                              // 00000000CD4C: D1CB00AA 06AA0D0A
	v_fma_f32 v171, v11, v6, v171                              // 00000000CD54: D1CB00AB 06AE0D0B
	v_fma_f32 v184, v12, v6, v184                              // 00000000CD5C: D1CB00B8 06E20D0C
	v_fma_f32 v185, v13, v6, v185                              // 00000000CD64: D1CB00B9 06E60D0D
	v_fma_f32 v186, v14, v6, v186                              // 00000000CD6C: D1CB00BA 06EA0D0E
	v_fma_f32 v187, v15, v6, v187                              // 00000000CD74: D1CB00BB 06EE0D0F
	s_addk_i32 s80, 0x80                                       // 00000000CD7C: B7500080
	s_cmp_lt_i32 s80, s81                                      // 00000000CD80: BF045150
	s_cbranch_scc0 label_30B1                                  // 00000000CD84: BF8407CC
	s_waitcnt vmcnt(21) lgkmcnt(0)                             // 00000000CD88: BF8C4075
	v_mul_f32_dpp v4, v24, v34 row_newbcast:0 row_mask:0xf bank_mask:0xf// 00000000CD8C: 0A0844FA FF015018
	v_mfma_f32_16x16x32_fp8_fp8 v[8:11], a[64:65], a[32:33], 0 // 00000000CD94: D3F30008 1A024140
	buffer_load_dword v25, v22, s[32:35], 0 offen              // 00000000CD9C: E0501000 80081916
	buffer_load_dwordx4 a[128:131], v54, s[24:27], 0 offen     // 00000000CDA4: E05C1000 80868036
	v_mfma_f32_16x16x32_fp8_fp8 v[8:11], a[66:67], a[34:35], v[8:11]// 00000000CDAC: D3F30008 1C224542
	v_mfma_f32_16x16x32_fp8_fp8 v[8:11], a[68:69], a[36:37], v[8:11]// 00000000CDB4: D3F30008 1C224944
	v_mfma_f32_16x16x32_fp8_fp8 v[8:11], a[70:71], a[38:39], v[8:11]// 00000000CDBC: D3F30008 1C224D46
	v_mfma_f32_16x16x32_fp8_fp8 v[12:15], a[72:73], a[32:33], 0// 00000000CDC4: D3F3000C 1A024148
	buffer_load_dwordx4 a[132:135], v54, s[24:27], 0 offen offset:1024// 00000000CDCC: E05C1400 80868436
	v_mfma_f32_16x16x32_fp8_fp8 v[12:15], a[74:75], a[34:35], v[12:15]// 00000000CDD4: D3F3000C 1C32454A
	v_mfma_f32_16x16x32_fp8_fp8 v[12:15], a[76:77], a[36:37], v[12:15]// 00000000CDDC: D3F3000C 1C32494C
	v_mfma_f32_16x16x32_fp8_fp8 v[12:15], a[78:79], a[38:39], v[12:15]// 00000000CDE4: D3F3000C 1C324D4E
	v_fma_f32 v60, v8, v4, v60                                 // 00000000CDEC: D1CB003C 04F20908
	v_fma_f32 v61, v9, v4, v61                                 // 00000000CDF4: D1CB003D 04F60909
	v_fma_f32 v62, v10, v4, v62                                // 00000000CDFC: D1CB003E 04FA090A
	v_fma_f32 v63, v11, v4, v63                                // 00000000CE04: D1CB003F 04FE090B
	v_mul_f32_dpp v6, v24, v34 row_newbcast:1 row_mask:0xf bank_mask:0xf// 00000000CE0C: 0A0C44FA FF015118
	v_mfma_f32_16x16x32_fp8_fp8 v[8:11], a[80:81], a[32:33], 0 // 00000000CE14: D3F30008 1A024150
	buffer_load_dwordx4 a[136:139], v55, s[24:27], 0 offen     // 00000000CE1C: E05C1000 80868837
	v_mfma_f32_16x16x32_fp8_fp8 v[8:11], a[82:83], a[34:35], v[8:11]// 00000000CE24: D3F30008 1C224552
	v_mfma_f32_16x16x32_fp8_fp8 v[8:11], a[84:85], a[36:37], v[8:11]// 00000000CE2C: D3F30008 1C224954
	v_mfma_f32_16x16x32_fp8_fp8 v[8:11], a[86:87], a[38:39], v[8:11]// 00000000CE34: D3F30008 1C224D56
	v_fma_f32 v76, v12, v4, v76                                // 00000000CE3C: D1CB004C 0532090C
	v_fma_f32 v77, v13, v4, v77                                // 00000000CE44: D1CB004D 0536090D
	v_fma_f32 v78, v14, v4, v78                                // 00000000CE4C: D1CB004E 053A090E
	v_fma_f32 v79, v15, v4, v79                                // 00000000CE54: D1CB004F 053E090F
	v_mfma_f32_16x16x32_fp8_fp8 v[12:15], a[88:89], a[32:33], 0// 00000000CE5C: D3F3000C 1A024158
	buffer_load_dwordx4 a[140:143], v55, s[24:27], 0 offen offset:1024// 00000000CE64: E05C1400 80868C37
	v_mfma_f32_16x16x32_fp8_fp8 v[12:15], a[90:91], a[34:35], v[12:15]// 00000000CE6C: D3F3000C 1C32455A
	v_mfma_f32_16x16x32_fp8_fp8 v[12:15], a[92:93], a[36:37], v[12:15]// 00000000CE74: D3F3000C 1C32495C
	v_mfma_f32_16x16x32_fp8_fp8 v[12:15], a[94:95], a[38:39], v[12:15]// 00000000CE7C: D3F3000C 1C324D5E
	v_fma_f32 v92, v8, v6, v92                                 // 00000000CE84: D1CB005C 05720D08
	v_fma_f32 v93, v9, v6, v93                                 // 00000000CE8C: D1CB005D 05760D09
	v_fma_f32 v94, v10, v6, v94                                // 00000000CE94: D1CB005E 057A0D0A
	v_fma_f32 v95, v11, v6, v95                                // 00000000CE9C: D1CB005F 057E0D0B
	v_mul_f32_dpp v4, v24, v35 row_newbcast:0 row_mask:0xf bank_mask:0xf// 00000000CEA4: 0A0846FA FF015018
	v_mfma_f32_16x16x32_fp8_fp8 v[8:11], a[64:65], a[40:41], 0 // 00000000CEAC: D3F30008 1A025140
	buffer_load_dwordx4 a[144:147], v56, s[24:27], 0 offen     // 00000000CEB4: E05C1000 80869038
	v_mfma_f32_16x16x32_fp8_fp8 v[8:11], a[66:67], a[42:43], v[8:11]// 00000000CEBC: D3F30008 1C225542
	v_mfma_f32_16x16x32_fp8_fp8 v[8:11], a[68:69], a[44:45], v[8:11]// 00000000CEC4: D3F30008 1C225944
	v_mfma_f32_16x16x32_fp8_fp8 v[8:11], a[70:71], a[46:47], v[8:11]// 00000000CECC: D3F30008 1C225D46
	v_fma_f32 v108, v12, v6, v108                              // 00000000CED4: D1CB006C 05B20D0C
	v_fma_f32 v109, v13, v6, v109                              // 00000000CEDC: D1CB006D 05B60D0D
	v_fma_f32 v110, v14, v6, v110                              // 00000000CEE4: D1CB006E 05BA0D0E
	v_fma_f32 v111, v15, v6, v111                              // 00000000CEEC: D1CB006F 05BE0D0F
	v_mfma_f32_16x16x32_fp8_fp8 v[12:15], a[72:73], a[40:41], 0// 00000000CEF4: D3F3000C 1A025148
	buffer_load_dwordx4 a[148:151], v56, s[24:27], 0 offen offset:1024// 00000000CEFC: E05C1400 80869438
	v_mfma_f32_16x16x32_fp8_fp8 v[12:15], a[74:75], a[42:43], v[12:15]// 00000000CF04: D3F3000C 1C32554A
	v_mfma_f32_16x16x32_fp8_fp8 v[12:15], a[76:77], a[44:45], v[12:15]// 00000000CF0C: D3F3000C 1C32594C
	v_mfma_f32_16x16x32_fp8_fp8 v[12:15], a[78:79], a[46:47], v[12:15]// 00000000CF14: D3F3000C 1C325D4E
	v_fma_f32 v64, v8, v4, v64                                 // 00000000CF1C: D1CB0040 05020908
	v_fma_f32 v65, v9, v4, v65                                 // 00000000CF24: D1CB0041 05060909
	v_fma_f32 v66, v10, v4, v66                                // 00000000CF2C: D1CB0042 050A090A
	v_fma_f32 v67, v11, v4, v67                                // 00000000CF34: D1CB0043 050E090B
	v_mul_f32_dpp v6, v24, v35 row_newbcast:1 row_mask:0xf bank_mask:0xf// 00000000CF3C: 0A0C46FA FF015118
	v_mfma_f32_16x16x32_fp8_fp8 v[8:11], a[80:81], a[40:41], 0 // 00000000CF44: D3F30008 1A025150
	buffer_load_dwordx4 a[152:155], v57, s[24:27], 0 offen     // 00000000CF4C: E05C1000 80869839
	v_mfma_f32_16x16x32_fp8_fp8 v[8:11], a[82:83], a[42:43], v[8:11]// 00000000CF54: D3F30008 1C225552
	v_mfma_f32_16x16x32_fp8_fp8 v[8:11], a[84:85], a[44:45], v[8:11]// 00000000CF5C: D3F30008 1C225954
	v_mfma_f32_16x16x32_fp8_fp8 v[8:11], a[86:87], a[46:47], v[8:11]// 00000000CF64: D3F30008 1C225D56
	v_fma_f32 v80, v12, v4, v80                                // 00000000CF6C: D1CB0050 0542090C
	v_fma_f32 v81, v13, v4, v81                                // 00000000CF74: D1CB0051 0546090D
	v_fma_f32 v82, v14, v4, v82                                // 00000000CF7C: D1CB0052 054A090E
	v_fma_f32 v83, v15, v4, v83                                // 00000000CF84: D1CB0053 054E090F
	v_mfma_f32_16x16x32_fp8_fp8 v[12:15], a[88:89], a[40:41], 0// 00000000CF8C: D3F3000C 1A025158
	buffer_load_dwordx4 a[156:159], v57, s[24:27], 0 offen offset:1024// 00000000CF94: E05C1400 80869C39
	buffer_load_dword v46, s[20:23], 0 offen lds               // 00000000CF9C: E0511000 8005002E
	s_add_u32 m0, 0x100, s50                                   // 00000000CFA4: 807C32FF 00000100
	v_mfma_f32_16x16x32_fp8_fp8 v[12:15], a[90:91], a[42:43], v[12:15]// 00000000CFAC: D3F3000C 1C32555A
	v_mfma_f32_16x16x32_fp8_fp8 v[12:15], a[92:93], a[44:45], v[12:15]// 00000000CFB4: D3F3000C 1C32595C
	buffer_load_dword v47, s[20:23], 0 offen lds               // 00000000CFBC: E0511000 8005002F
	s_add_u32 m0, 0x200, s50                                   // 00000000CFC4: 807C32FF 00000200
	v_mfma_f32_16x16x32_fp8_fp8 v[12:15], a[94:95], a[46:47], v[12:15]// 00000000CFCC: D3F3000C 1C325D5E
	v_fma_f32 v96, v8, v6, v96                                 // 00000000CFD4: D1CB0060 05820D08
	v_fma_f32 v97, v9, v6, v97                                 // 00000000CFDC: D1CB0061 05860D09
	v_fma_f32 v98, v10, v6, v98                                // 00000000CFE4: D1CB0062 058A0D0A
	v_fma_f32 v99, v11, v6, v99                                // 00000000CFEC: D1CB0063 058E0D0B
	v_mul_f32_dpp v4, v24, v36 row_newbcast:0 row_mask:0xf bank_mask:0xf// 00000000CFF4: 0A0848FA FF015018
	v_mfma_f32_16x16x32_fp8_fp8 v[8:11], a[64:65], a[48:49], 0 // 00000000CFFC: D3F30008 1A026140
	buffer_load_dword v48, s[20:23], 0 offen lds               // 00000000D004: E0511000 80050030
	s_add_u32 m0, 0x300, s50                                   // 00000000D00C: 807C32FF 00000300
	v_mfma_f32_16x16x32_fp8_fp8 v[8:11], a[66:67], a[50:51], v[8:11]// 00000000D014: D3F30008 1C226542
	v_mfma_f32_16x16x32_fp8_fp8 v[8:11], a[68:69], a[52:53], v[8:11]// 00000000D01C: D3F30008 1C226944
	buffer_load_dword v49, s[20:23], 0 offen lds               // 00000000D024: E0511000 80050031
	s_add_u32 m0, 0x400, s50                                   // 00000000D02C: 807C32FF 00000400
	v_mfma_f32_16x16x32_fp8_fp8 v[8:11], a[70:71], a[54:55], v[8:11]// 00000000D034: D3F30008 1C226D46
	v_fma_f32 v112, v12, v6, v112                              // 00000000D03C: D1CB0070 05C20D0C
	v_fma_f32 v113, v13, v6, v113                              // 00000000D044: D1CB0071 05C60D0D
	v_fma_f32 v114, v14, v6, v114                              // 00000000D04C: D1CB0072 05CA0D0E
	v_fma_f32 v115, v15, v6, v115                              // 00000000D054: D1CB0073 05CE0D0F
	v_mfma_f32_16x16x32_fp8_fp8 v[12:15], a[72:73], a[48:49], 0// 00000000D05C: D3F3000C 1A026148
	buffer_load_dword v50, s[20:23], 0 offen lds               // 00000000D064: E0511000 80050032
	s_add_u32 m0, 0x500, s50                                   // 00000000D06C: 807C32FF 00000500
	v_mfma_f32_16x16x32_fp8_fp8 v[12:15], a[74:75], a[50:51], v[12:15]// 00000000D074: D3F3000C 1C32654A
	v_mfma_f32_16x16x32_fp8_fp8 v[12:15], a[76:77], a[52:53], v[12:15]// 00000000D07C: D3F3000C 1C32694C
	buffer_load_dword v51, s[20:23], 0 offen lds               // 00000000D084: E0511000 80050033
	s_add_u32 m0, 0x600, s50                                   // 00000000D08C: 807C32FF 00000600
	v_mfma_f32_16x16x32_fp8_fp8 v[12:15], a[78:79], a[54:55], v[12:15]// 00000000D094: D3F3000C 1C326D4E
	v_fma_f32 v68, v8, v4, v68                                 // 00000000D09C: D1CB0044 05120908
	v_fma_f32 v69, v9, v4, v69                                 // 00000000D0A4: D1CB0045 05160909
	v_fma_f32 v70, v10, v4, v70                                // 00000000D0AC: D1CB0046 051A090A
	v_fma_f32 v71, v11, v4, v71                                // 00000000D0B4: D1CB0047 051E090B
	v_mul_f32_dpp v6, v24, v36 row_newbcast:1 row_mask:0xf bank_mask:0xf// 00000000D0BC: 0A0C48FA FF015118
	v_mfma_f32_16x16x32_fp8_fp8 v[8:11], a[80:81], a[48:49], 0 // 00000000D0C4: D3F30008 1A026150
	buffer_load_dword v52, s[20:23], 0 offen lds               // 00000000D0CC: E0511000 80050034
	s_add_u32 m0, 0x700, s50                                   // 00000000D0D4: 807C32FF 00000700
	v_mfma_f32_16x16x32_fp8_fp8 v[8:11], a[82:83], a[50:51], v[8:11]// 00000000D0DC: D3F30008 1C226552
	v_mfma_f32_16x16x32_fp8_fp8 v[8:11], a[84:85], a[52:53], v[8:11]// 00000000D0E4: D3F30008 1C226954
	buffer_load_dword v53, s[20:23], 0 offen lds               // 00000000D0EC: E0511000 80050035
	s_add_u32 m0, 0, s48                                       // 00000000D0F4: 807C3080
	v_mfma_f32_16x16x32_fp8_fp8 v[8:11], a[86:87], a[54:55], v[8:11]// 00000000D0F8: D3F30008 1C226D56
	v_fma_f32 v84, v12, v4, v84                                // 00000000D100: D1CB0054 0552090C
	v_fma_f32 v85, v13, v4, v85                                // 00000000D108: D1CB0055 0556090D
	v_fma_f32 v86, v14, v4, v86                                // 00000000D110: D1CB0056 055A090E
	v_fma_f32 v87, v15, v4, v87                                // 00000000D118: D1CB0057 055E090F
	v_mfma_f32_16x16x32_fp8_fp8 v[12:15], a[88:89], a[48:49], 0// 00000000D120: D3F3000C 1A026158
	buffer_load_dword v42, v30, s[28:31], 0 offen              // 00000000D128: E0501000 80072A1E
	v_mfma_f32_16x16x32_fp8_fp8 v[12:15], a[90:91], a[50:51], v[12:15]// 00000000D130: D3F3000C 1C32655A
	v_mfma_f32_16x16x32_fp8_fp8 v[12:15], a[92:93], a[52:53], v[12:15]// 00000000D138: D3F3000C 1C32695C
	buffer_load_dword v43, v31, s[28:31], 0 offen              // 00000000D140: E0501000 80072B1F
	v_mfma_f32_16x16x32_fp8_fp8 v[12:15], a[94:95], a[54:55], v[12:15]// 00000000D148: D3F3000C 1C326D5E
	v_fma_f32 v100, v8, v6, v100                               // 00000000D150: D1CB0064 05920D08
	v_fma_f32 v101, v9, v6, v101                               // 00000000D158: D1CB0065 05960D09
	v_fma_f32 v102, v10, v6, v102                              // 00000000D160: D1CB0066 059A0D0A
	v_fma_f32 v103, v11, v6, v103                              // 00000000D168: D1CB0067 059E0D0B
	v_mul_f32_dpp v4, v24, v37 row_newbcast:0 row_mask:0xf bank_mask:0xf// 00000000D170: 0A084AFA FF015018
	v_mfma_f32_16x16x32_fp8_fp8 v[8:11], a[64:65], a[56:57], 0 // 00000000D178: D3F30008 1A027140
	buffer_load_dword v44, v32, s[28:31], 0 offen              // 00000000D180: E0501000 80072C20
	v_mfma_f32_16x16x32_fp8_fp8 v[8:11], a[66:67], a[58:59], v[8:11]// 00000000D188: D3F30008 1C227542
	v_mfma_f32_16x16x32_fp8_fp8 v[8:11], a[68:69], a[60:61], v[8:11]// 00000000D190: D3F30008 1C227944
	buffer_load_dword v45, v33, s[28:31], 0 offen              // 00000000D198: E0501000 80072D21
	v_mfma_f32_16x16x32_fp8_fp8 v[8:11], a[70:71], a[62:63], v[8:11]// 00000000D1A0: D3F30008 1C227D46
	v_fma_f32 v116, v12, v6, v116                              // 00000000D1A8: D1CB0074 05D20D0C
	v_fma_f32 v117, v13, v6, v117                              // 00000000D1B0: D1CB0075 05D60D0D
	v_fma_f32 v118, v14, v6, v118                              // 00000000D1B8: D1CB0076 05DA0D0E
	v_fma_f32 v119, v15, v6, v119                              // 00000000D1C0: D1CB0077 05DE0D0F
	v_mfma_f32_16x16x32_fp8_fp8 v[12:15], a[72:73], a[56:57], 0// 00000000D1C8: D3F3000C 1A027148
	v_mfma_f32_16x16x32_fp8_fp8 v[12:15], a[74:75], a[58:59], v[12:15]// 00000000D1D0: D3F3000C 1C32754A
	v_mfma_f32_16x16x32_fp8_fp8 v[12:15], a[76:77], a[60:61], v[12:15]// 00000000D1D8: D3F3000C 1C32794C
	v_mfma_f32_16x16x32_fp8_fp8 v[12:15], a[78:79], a[62:63], v[12:15]// 00000000D1E0: D3F3000C 1C327D4E
	v_fma_f32 v72, v8, v4, v72                                 // 00000000D1E8: D1CB0048 05220908
	v_fma_f32 v73, v9, v4, v73                                 // 00000000D1F0: D1CB0049 05260909
	v_fma_f32 v74, v10, v4, v74                                // 00000000D1F8: D1CB004A 052A090A
	v_fma_f32 v75, v11, v4, v75                                // 00000000D200: D1CB004B 052E090B
	v_mul_f32_dpp v6, v24, v37 row_newbcast:1 row_mask:0xf bank_mask:0xf// 00000000D208: 0A0C4AFA FF015118
	v_mfma_f32_16x16x32_fp8_fp8 v[8:11], a[80:81], a[56:57], 0 // 00000000D210: D3F30008 1A027150
	v_mfma_f32_16x16x32_fp8_fp8 v[8:11], a[82:83], a[58:59], v[8:11]// 00000000D218: D3F30008 1C227552
	v_mfma_f32_16x16x32_fp8_fp8 v[8:11], a[84:85], a[60:61], v[8:11]// 00000000D220: D3F30008 1C227954
	v_mfma_f32_16x16x32_fp8_fp8 v[8:11], a[86:87], a[62:63], v[8:11]// 00000000D228: D3F30008 1C227D56
	v_fma_f32 v88, v12, v4, v88                                // 00000000D230: D1CB0058 0562090C
	v_fma_f32 v89, v13, v4, v89                                // 00000000D238: D1CB0059 0566090D
	v_fma_f32 v90, v14, v4, v90                                // 00000000D240: D1CB005A 056A090E
	v_fma_f32 v91, v15, v4, v91                                // 00000000D248: D1CB005B 056E090F
	v_mfma_f32_16x16x32_fp8_fp8 v[12:15], a[88:89], a[56:57], 0// 00000000D250: D3F3000C 1A027158
	v_mfma_f32_16x16x32_fp8_fp8 v[12:15], a[90:91], a[58:59], v[12:15]// 00000000D258: D3F3000C 1C32755A
	v_mfma_f32_16x16x32_fp8_fp8 v[12:15], a[92:93], a[60:61], v[12:15]// 00000000D260: D3F3000C 1C32795C
	v_mfma_f32_16x16x32_fp8_fp8 v[12:15], a[94:95], a[62:63], v[12:15]// 00000000D268: D3F3000C 1C327D5E
	v_fma_f32 v104, v8, v6, v104                               // 00000000D270: D1CB0068 05A20D08
	v_fma_f32 v105, v9, v6, v105                               // 00000000D278: D1CB0069 05A60D09
	v_fma_f32 v106, v10, v6, v106                              // 00000000D280: D1CB006A 05AA0D0A
	v_fma_f32 v107, v11, v6, v107                              // 00000000D288: D1CB006B 05AE0D0B
	v_fma_f32 v120, v12, v6, v120                              // 00000000D290: D1CB0078 05E20D0C
	v_fma_f32 v121, v13, v6, v121                              // 00000000D298: D1CB0079 05E60D0D
	v_fma_f32 v122, v14, v6, v122                              // 00000000D2A0: D1CB007A 05EA0D0E
	v_fma_f32 v123, v15, v6, v123                              // 00000000D2A8: D1CB007B 05EE0D0F
	s_waitcnt vmcnt(21)                                        // 00000000D2B0: BF8C4F75
	s_barrier                                                  // 00000000D2B4: BF8A0000
	v_mul_f32_dpp v4, v27, v34 row_newbcast:0 row_mask:0xf bank_mask:0xf// 00000000D2B8: 0A0844FA FF01501B
	v_mfma_f32_16x16x32_fp8_fp8 v[8:11], a[96:97], a[32:33], 0 // 00000000D2C0: D3F30008 1A024160
	buffer_load_dword v28, v23, s[32:35], 0 offen              // 00000000D2C8: E0501000 80081C17
	buffer_load_dwordx4 a[64:67], v54, s[84:87], 0 offen       // 00000000D2D0: E05C1000 80954036
	v_mfma_f32_16x16x32_fp8_fp8 v[8:11], a[98:99], a[34:35], v[8:11]// 00000000D2D8: D3F30008 1C224562
	v_mfma_f32_16x16x32_fp8_fp8 v[8:11], a[100:101], a[36:37], v[8:11]// 00000000D2E0: D3F30008 1C224964
	ds_read_b128 a[0:3], v2 offset:8320                        // 00000000D2E8: DBFE2080 00000002
	ds_read_b128 a[4:7], v2 offset:8384                        // 00000000D2F0: DBFE20C0 04000002
	v_mfma_f32_16x16x32_fp8_fp8 v[8:11], a[102:103], a[38:39], v[8:11]// 00000000D2F8: D3F30008 1C224D66
	v_mfma_f32_16x16x32_fp8_fp8 v[12:15], a[104:105], a[32:33], 0// 00000000D300: D3F3000C 1A024168
	buffer_load_dwordx4 a[68:71], v54, s[84:87], 0 offen offset:1024// 00000000D308: E05C1400 80954436
	v_mfma_f32_16x16x32_fp8_fp8 v[12:15], a[106:107], a[34:35], v[12:15]// 00000000D310: D3F3000C 1C32456A
	v_mfma_f32_16x16x32_fp8_fp8 v[12:15], a[108:109], a[36:37], v[12:15]// 00000000D318: D3F3000C 1C32496C
	ds_read_b128 a[8:11], v2 offset:8832                       // 00000000D320: DBFE2280 08000002
	ds_read_b128 a[12:15], v2 offset:8896                      // 00000000D328: DBFE22C0 0C000002
	v_mfma_f32_16x16x32_fp8_fp8 v[12:15], a[110:111], a[38:39], v[12:15]// 00000000D330: D3F3000C 1C324D6E
	v_fma_f32 v124, v8, v4, v124                               // 00000000D338: D1CB007C 05F20908
	v_fma_f32 v125, v9, v4, v125                               // 00000000D340: D1CB007D 05F60909
	v_fma_f32 v126, v10, v4, v126                              // 00000000D348: D1CB007E 05FA090A
	v_fma_f32 v127, v11, v4, v127                              // 00000000D350: D1CB007F 05FE090B
	v_mul_f32_dpp v6, v27, v34 row_newbcast:1 row_mask:0xf bank_mask:0xf// 00000000D358: 0A0C44FA FF01511B
	v_mfma_f32_16x16x32_fp8_fp8 v[8:11], a[112:113], a[32:33], 0// 00000000D360: D3F30008 1A024170
	buffer_load_dwordx4 a[72:75], v55, s[84:87], 0 offen       // 00000000D368: E05C1000 80954837
	v_mfma_f32_16x16x32_fp8_fp8 v[8:11], a[114:115], a[34:35], v[8:11]// 00000000D370: D3F30008 1C224572
	v_mfma_f32_16x16x32_fp8_fp8 v[8:11], a[116:117], a[36:37], v[8:11]// 00000000D378: D3F30008 1C224974
	ds_read_b128 a[16:19], v2 offset:9344                      // 00000000D380: DBFE2480 10000002
	ds_read_b128 a[20:23], v2 offset:9408                      // 00000000D388: DBFE24C0 14000002
	v_mfma_f32_16x16x32_fp8_fp8 v[8:11], a[118:119], a[38:39], v[8:11]// 00000000D390: D3F30008 1C224D76
	v_fma_f32 v140, v12, v4, v140                              // 00000000D398: D1CB008C 0632090C
	v_fma_f32 v141, v13, v4, v141                              // 00000000D3A0: D1CB008D 0636090D
	v_fma_f32 v142, v14, v4, v142                              // 00000000D3A8: D1CB008E 063A090E
	v_fma_f32 v143, v15, v4, v143                              // 00000000D3B0: D1CB008F 063E090F
	v_mfma_f32_16x16x32_fp8_fp8 v[12:15], a[120:121], a[32:33], 0// 00000000D3B8: D3F3000C 1A024178
	buffer_load_dwordx4 a[76:79], v55, s[84:87], 0 offen offset:1024// 00000000D3C0: E05C1400 80954C37
	v_mfma_f32_16x16x32_fp8_fp8 v[12:15], a[122:123], a[34:35], v[12:15]// 00000000D3C8: D3F3000C 1C32457A
	v_mfma_f32_16x16x32_fp8_fp8 v[12:15], a[124:125], a[36:37], v[12:15]// 00000000D3D0: D3F3000C 1C32497C
	ds_read_b128 a[24:27], v2 offset:9856                      // 00000000D3D8: DBFE2680 18000002
	ds_read_b128 a[28:31], v2 offset:9920                      // 00000000D3E0: DBFE26C0 1C000002
	v_mfma_f32_16x16x32_fp8_fp8 v[12:15], a[126:127], a[38:39], v[12:15]// 00000000D3E8: D3F3000C 1C324D7E
	v_fma_f32 v156, v8, v6, v156                               // 00000000D3F0: D1CB009C 06720D08
	v_fma_f32 v157, v9, v6, v157                               // 00000000D3F8: D1CB009D 06760D09
	v_fma_f32 v158, v10, v6, v158                              // 00000000D400: D1CB009E 067A0D0A
	v_fma_f32 v159, v11, v6, v159                              // 00000000D408: D1CB009F 067E0D0B
	v_mul_f32_dpp v4, v27, v35 row_newbcast:0 row_mask:0xf bank_mask:0xf// 00000000D410: 0A0846FA FF01501B
	v_mfma_f32_16x16x32_fp8_fp8 v[8:11], a[96:97], a[40:41], 0 // 00000000D418: D3F30008 1A025160
	buffer_load_dwordx4 a[80:83], v56, s[84:87], 0 offen       // 00000000D420: E05C1000 80955038
	v_mfma_f32_16x16x32_fp8_fp8 v[8:11], a[98:99], a[42:43], v[8:11]// 00000000D428: D3F30008 1C225562
	v_mfma_f32_16x16x32_fp8_fp8 v[8:11], a[100:101], a[44:45], v[8:11]// 00000000D430: D3F30008 1C225964
	v_mfma_f32_16x16x32_fp8_fp8 v[8:11], a[102:103], a[46:47], v[8:11]// 00000000D438: D3F30008 1C225D66
	v_fma_f32 v172, v12, v6, v172                              // 00000000D440: D1CB00AC 06B20D0C
	v_fma_f32 v173, v13, v6, v173                              // 00000000D448: D1CB00AD 06B60D0D
	v_fma_f32 v174, v14, v6, v174                              // 00000000D450: D1CB00AE 06BA0D0E
	v_fma_f32 v175, v15, v6, v175                              // 00000000D458: D1CB00AF 06BE0D0F
	v_mfma_f32_16x16x32_fp8_fp8 v[12:15], a[104:105], a[40:41], 0// 00000000D460: D3F3000C 1A025168
	buffer_load_dwordx4 a[84:87], v56, s[84:87], 0 offen offset:1024// 00000000D468: E05C1400 80955438
	v_mfma_f32_16x16x32_fp8_fp8 v[12:15], a[106:107], a[42:43], v[12:15]// 00000000D470: D3F3000C 1C32556A
	v_mfma_f32_16x16x32_fp8_fp8 v[12:15], a[108:109], a[44:45], v[12:15]// 00000000D478: D3F3000C 1C32596C
	v_mfma_f32_16x16x32_fp8_fp8 v[12:15], a[110:111], a[46:47], v[12:15]// 00000000D480: D3F3000C 1C325D6E
	v_fma_f32 v128, v8, v4, v128                               // 00000000D488: D1CB0080 06020908
	v_fma_f32 v129, v9, v4, v129                               // 00000000D490: D1CB0081 06060909
	v_fma_f32 v130, v10, v4, v130                              // 00000000D498: D1CB0082 060A090A
	v_fma_f32 v131, v11, v4, v131                              // 00000000D4A0: D1CB0083 060E090B
	v_mul_f32_dpp v6, v27, v35 row_newbcast:1 row_mask:0xf bank_mask:0xf// 00000000D4A8: 0A0C46FA FF01511B
	v_mfma_f32_16x16x32_fp8_fp8 v[8:11], a[112:113], a[40:41], 0// 00000000D4B0: D3F30008 1A025170
	buffer_load_dwordx4 a[88:91], v57, s[84:87], 0 offen       // 00000000D4B8: E05C1000 80955839
	v_mfma_f32_16x16x32_fp8_fp8 v[8:11], a[114:115], a[42:43], v[8:11]// 00000000D4C0: D3F30008 1C225572
	v_mfma_f32_16x16x32_fp8_fp8 v[8:11], a[116:117], a[44:45], v[8:11]// 00000000D4C8: D3F30008 1C225974
	v_mfma_f32_16x16x32_fp8_fp8 v[8:11], a[118:119], a[46:47], v[8:11]// 00000000D4D0: D3F30008 1C225D76
	v_fma_f32 v144, v12, v4, v144                              // 00000000D4D8: D1CB0090 0642090C
	v_fma_f32 v145, v13, v4, v145                              // 00000000D4E0: D1CB0091 0646090D
	v_fma_f32 v146, v14, v4, v146                              // 00000000D4E8: D1CB0092 064A090E
	v_fma_f32 v147, v15, v4, v147                              // 00000000D4F0: D1CB0093 064E090F
	v_mfma_f32_16x16x32_fp8_fp8 v[12:15], a[120:121], a[40:41], 0// 00000000D4F8: D3F3000C 1A025178
	buffer_load_dwordx4 a[92:95], v57, s[84:87], 0 offen offset:1024// 00000000D500: E05C1400 80955C39
	v_mfma_f32_16x16x32_fp8_fp8 v[12:15], a[122:123], a[42:43], v[12:15]// 00000000D508: D3F3000C 1C32557A
	v_mfma_f32_16x16x32_fp8_fp8 v[12:15], a[124:125], a[44:45], v[12:15]// 00000000D510: D3F3000C 1C32597C
	v_mfma_f32_16x16x32_fp8_fp8 v[12:15], a[126:127], a[46:47], v[12:15]// 00000000D518: D3F3000C 1C325D7E
	v_fma_f32 v160, v8, v6, v160                               // 00000000D520: D1CB00A0 06820D08
	v_fma_f32 v161, v9, v6, v161                               // 00000000D528: D1CB00A1 06860D09
	v_fma_f32 v162, v10, v6, v162                              // 00000000D530: D1CB00A2 068A0D0A
	v_fma_f32 v163, v11, v6, v163                              // 00000000D538: D1CB00A3 068E0D0B
	v_mul_f32_dpp v4, v27, v36 row_newbcast:0 row_mask:0xf bank_mask:0xf// 00000000D540: 0A0848FA FF01501B
	v_mfma_f32_16x16x32_fp8_fp8 v[8:11], a[96:97], a[48:49], 0 // 00000000D548: D3F30008 1A026160
	v_mfma_f32_16x16x32_fp8_fp8 v[8:11], a[98:99], a[50:51], v[8:11]// 00000000D550: D3F30008 1C226562
	v_mfma_f32_16x16x32_fp8_fp8 v[8:11], a[100:101], a[52:53], v[8:11]// 00000000D558: D3F30008 1C226964
	v_mfma_f32_16x16x32_fp8_fp8 v[8:11], a[102:103], a[54:55], v[8:11]// 00000000D560: D3F30008 1C226D66
	v_fma_f32 v176, v12, v6, v176                              // 00000000D568: D1CB00B0 06C20D0C
	v_fma_f32 v177, v13, v6, v177                              // 00000000D570: D1CB00B1 06C60D0D
	v_fma_f32 v178, v14, v6, v178                              // 00000000D578: D1CB00B2 06CA0D0E
	v_fma_f32 v179, v15, v6, v179                              // 00000000D580: D1CB00B3 06CE0D0F
	v_mfma_f32_16x16x32_fp8_fp8 v[12:15], a[104:105], a[48:49], 0// 00000000D588: D3F3000C 1A026168
	v_mfma_f32_16x16x32_fp8_fp8 v[12:15], a[106:107], a[50:51], v[12:15]// 00000000D590: D3F3000C 1C32656A
	v_mfma_f32_16x16x32_fp8_fp8 v[12:15], a[108:109], a[52:53], v[12:15]// 00000000D598: D3F3000C 1C32696C
	v_mfma_f32_16x16x32_fp8_fp8 v[12:15], a[110:111], a[54:55], v[12:15]// 00000000D5A0: D3F3000C 1C326D6E
	v_fma_f32 v132, v8, v4, v132                               // 00000000D5A8: D1CB0084 06120908
	v_fma_f32 v133, v9, v4, v133                               // 00000000D5B0: D1CB0085 06160909
	v_fma_f32 v134, v10, v4, v134                              // 00000000D5B8: D1CB0086 061A090A
	v_fma_f32 v135, v11, v4, v135                              // 00000000D5C0: D1CB0087 061E090B
	v_mul_f32_dpp v6, v27, v36 row_newbcast:1 row_mask:0xf bank_mask:0xf// 00000000D5C8: 0A0C48FA FF01511B
	v_mfma_f32_16x16x32_fp8_fp8 v[8:11], a[112:113], a[48:49], 0// 00000000D5D0: D3F30008 1A026170
	v_mfma_f32_16x16x32_fp8_fp8 v[8:11], a[114:115], a[50:51], v[8:11]// 00000000D5D8: D3F30008 1C226572
	v_mfma_f32_16x16x32_fp8_fp8 v[8:11], a[116:117], a[52:53], v[8:11]// 00000000D5E0: D3F30008 1C226974
	v_mfma_f32_16x16x32_fp8_fp8 v[8:11], a[118:119], a[54:55], v[8:11]// 00000000D5E8: D3F30008 1C226D76
	v_fma_f32 v148, v12, v4, v148                              // 00000000D5F0: D1CB0094 0652090C
	v_fma_f32 v149, v13, v4, v149                              // 00000000D5F8: D1CB0095 0656090D
	v_fma_f32 v150, v14, v4, v150                              // 00000000D600: D1CB0096 065A090E
	v_fma_f32 v151, v15, v4, v151                              // 00000000D608: D1CB0097 065E090F
	v_mfma_f32_16x16x32_fp8_fp8 v[12:15], a[120:121], a[48:49], 0// 00000000D610: D3F3000C 1A026178
	v_mfma_f32_16x16x32_fp8_fp8 v[12:15], a[122:123], a[50:51], v[12:15]// 00000000D618: D3F3000C 1C32657A
	v_mfma_f32_16x16x32_fp8_fp8 v[12:15], a[124:125], a[52:53], v[12:15]// 00000000D620: D3F3000C 1C32697C
	v_mfma_f32_16x16x32_fp8_fp8 v[12:15], a[126:127], a[54:55], v[12:15]// 00000000D628: D3F3000C 1C326D7E
	v_fma_f32 v164, v8, v6, v164                               // 00000000D630: D1CB00A4 06920D08
	v_fma_f32 v165, v9, v6, v165                               // 00000000D638: D1CB00A5 06960D09
	v_fma_f32 v166, v10, v6, v166                              // 00000000D640: D1CB00A6 069A0D0A
	v_fma_f32 v167, v11, v6, v167                              // 00000000D648: D1CB00A7 069E0D0B
	v_mul_f32_dpp v4, v27, v37 row_newbcast:0 row_mask:0xf bank_mask:0xf// 00000000D650: 0A084AFA FF01501B
	v_mfma_f32_16x16x32_fp8_fp8 v[8:11], a[96:97], a[56:57], 0 // 00000000D658: D3F30008 1A027160
	v_mfma_f32_16x16x32_fp8_fp8 v[8:11], a[98:99], a[58:59], v[8:11]// 00000000D660: D3F30008 1C227562
	v_mfma_f32_16x16x32_fp8_fp8 v[8:11], a[100:101], a[60:61], v[8:11]// 00000000D668: D3F30008 1C227964
	v_mfma_f32_16x16x32_fp8_fp8 v[8:11], a[102:103], a[62:63], v[8:11]// 00000000D670: D3F30008 1C227D66
	v_fma_f32 v180, v12, v6, v180                              // 00000000D678: D1CB00B4 06D20D0C
	v_fma_f32 v181, v13, v6, v181                              // 00000000D680: D1CB00B5 06D60D0D
	v_fma_f32 v182, v14, v6, v182                              // 00000000D688: D1CB00B6 06DA0D0E
	v_fma_f32 v183, v15, v6, v183                              // 00000000D690: D1CB00B7 06DE0D0F
	v_mfma_f32_16x16x32_fp8_fp8 v[12:15], a[104:105], a[56:57], 0// 00000000D698: D3F3000C 1A027168
	v_mfma_f32_16x16x32_fp8_fp8 v[12:15], a[106:107], a[58:59], v[12:15]// 00000000D6A0: D3F3000C 1C32756A
	v_mfma_f32_16x16x32_fp8_fp8 v[12:15], a[108:109], a[60:61], v[12:15]// 00000000D6A8: D3F3000C 1C32796C
	v_mfma_f32_16x16x32_fp8_fp8 v[12:15], a[110:111], a[62:63], v[12:15]// 00000000D6B0: D3F3000C 1C327D6E
	v_fma_f32 v136, v8, v4, v136                               // 00000000D6B8: D1CB0088 06220908
	v_fma_f32 v137, v9, v4, v137                               // 00000000D6C0: D1CB0089 06260909
	v_fma_f32 v138, v10, v4, v138                              // 00000000D6C8: D1CB008A 062A090A
	v_fma_f32 v139, v11, v4, v139                              // 00000000D6D0: D1CB008B 062E090B
	v_mul_f32_dpp v6, v27, v37 row_newbcast:1 row_mask:0xf bank_mask:0xf// 00000000D6D8: 0A0C4AFA FF01511B
	v_mfma_f32_16x16x32_fp8_fp8 v[8:11], a[112:113], a[56:57], 0// 00000000D6E0: D3F30008 1A027170
	s_add_u32 s60, 0x180, s80                                  // 00000000D6E8: 803C50FF 00000180
	s_cmp_lt_u32 s60, s81                                      // 00000000D6F0: BF0A513C
	s_cselect_b32 s57, s57, 0                                  // 00000000D6F4: 85398039
	s_cselect_b32 s3, s3, 0                                    // 00000000D6F8: 85038003
	v_mfma_f32_16x16x32_fp8_fp8 v[8:11], a[114:115], a[58:59], v[8:11]// 00000000D6FC: D3F30008 1C227572
	s_add_u32 s60, 0x100, s80                                  // 00000000D704: 803C50FF 00000100
	s_cmp_lt_u32 s60, s81                                      // 00000000D70C: BF0A513C
	s_cselect_b32 s58, s58, 0                                  // 00000000D710: 853A803A
	v_mfma_f32_16x16x32_fp8_fp8 v[8:11], a[116:117], a[60:61], v[8:11]// 00000000D714: D3F30008 1C227974
	s_add_u32 s60, 0x100, s80                                  // 00000000D71C: 803C50FF 00000100
	s_cmp_lt_u32 s60, s81                                      // 00000000D724: BF0A513C
	s_cselect_b32 s83, s83, 0                                  // 00000000D728: 85538053
	s_cselect_b32 s4, s4, 0                                    // 00000000D72C: 85048004
	v_mfma_f32_16x16x32_fp8_fp8 v[8:11], a[118:119], a[62:63], v[8:11]// 00000000D730: D3F30008 1C227D76
	s_add_u32 s24, s58, s24                                    // 00000000D738: 8018183A
	s_addc_u32 s25, 0, s25                                     // 00000000D73C: 82191980
	v_fma_f32 v152, v12, v4, v152                              // 00000000D740: D1CB0098 0662090C
	v_fma_f32 v153, v13, v4, v153                              // 00000000D748: D1CB0099 0666090D
	v_fma_f32 v154, v14, v4, v154                              // 00000000D750: D1CB009A 066A090E
	v_fma_f32 v155, v15, v4, v155                              // 00000000D758: D1CB009B 066E090F
	v_mfma_f32_16x16x32_fp8_fp8 v[12:15], a[120:121], a[56:57], 0// 00000000D760: D3F3000C 1A027178
	s_add_u32 s20, s57, s20                                    // 00000000D768: 80141439
	s_addc_u32 s21, 0, s21                                     // 00000000D76C: 82151580
	s_add_u32 s28, s3, s28                                     // 00000000D770: 801C1C03
	s_addc_u32 s29, 0, s29                                     // 00000000D774: 821D1D80
	v_mfma_f32_16x16x32_fp8_fp8 v[12:15], a[122:123], a[58:59], v[12:15]// 00000000D778: D3F3000C 1C32757A
	s_add_u32 s84, s83, s84                                    // 00000000D780: 80545453
	s_addc_u32 s85, 0, s85                                     // 00000000D784: 82555580
	v_mfma_f32_16x16x32_fp8_fp8 v[12:15], a[124:125], a[60:61], v[12:15]// 00000000D788: D3F3000C 1C32797C
	s_add_u32 s32, s4, s32                                     // 00000000D790: 80202004
	s_addc_u32 s33, 0, s33                                     // 00000000D794: 82212180
	v_mfma_f32_16x16x32_fp8_fp8 v[12:15], a[126:127], a[62:63], v[12:15]// 00000000D798: D3F3000C 1C327D7E
	v_fma_f32 v168, v8, v6, v168                               // 00000000D7A0: D1CB00A8 06A20D08
	v_fma_f32 v169, v9, v6, v169                               // 00000000D7A8: D1CB00A9 06A60D09
	v_fma_f32 v170, v10, v6, v170                              // 00000000D7B0: D1CB00AA 06AA0D0A
	v_fma_f32 v171, v11, v6, v171                              // 00000000D7B8: D1CB00AB 06AE0D0B
	v_fma_f32 v184, v12, v6, v184                              // 00000000D7C0: D1CB00B8 06E20D0C
	v_fma_f32 v185, v13, v6, v185                              // 00000000D7C8: D1CB00B9 06E60D0D
	v_fma_f32 v186, v14, v6, v186                              // 00000000D7D0: D1CB00BA 06EA0D0E
	v_fma_f32 v187, v15, v6, v187                              // 00000000D7D8: D1CB00BB 06EE0D0F
	s_addk_i32 s80, 0x80                                       // 00000000D7E0: B7500080
	s_cmp_lt_i32 s80, s81                                      // 00000000D7E4: BF045150
	s_cbranch_scc0 label_30B1                                  // 00000000D7E8: BF840533
	s_waitcnt vmcnt(21) lgkmcnt(0)                             // 00000000D7EC: BF8C4075
	v_mul_f32_dpp v4, v25, v38 row_newbcast:0 row_mask:0xf bank_mask:0xf// 00000000D7F0: 0A084CFA FF015019
	v_mfma_f32_16x16x32_fp8_fp8 v[8:11], a[128:129], a[0:1], 0 // 00000000D7F8: D3F30008 1A020180
	buffer_load_dword v26, v22, s[32:35], 0 offen              // 00000000D800: E0501000 80081A16
	buffer_load_dwordx4 a[96:99], v54, s[24:27], 0 offen       // 00000000D808: E05C1000 80866036
	v_mfma_f32_16x16x32_fp8_fp8 v[8:11], a[130:131], a[2:3], v[8:11]// 00000000D810: D3F30008 1C220582
	v_mfma_f32_16x16x32_fp8_fp8 v[8:11], a[132:133], a[4:5], v[8:11]// 00000000D818: D3F30008 1C220984
	v_mfma_f32_16x16x32_fp8_fp8 v[8:11], a[134:135], a[6:7], v[8:11]// 00000000D820: D3F30008 1C220D86
	v_mfma_f32_16x16x32_fp8_fp8 v[12:15], a[136:137], a[0:1], 0// 00000000D828: D3F3000C 1A020188
	buffer_load_dwordx4 a[100:103], v54, s[24:27], 0 offen offset:1024// 00000000D830: E05C1400 80866436
	v_mfma_f32_16x16x32_fp8_fp8 v[12:15], a[138:139], a[2:3], v[12:15]// 00000000D838: D3F3000C 1C32058A
	v_mfma_f32_16x16x32_fp8_fp8 v[12:15], a[140:141], a[4:5], v[12:15]// 00000000D840: D3F3000C 1C32098C
	v_mfma_f32_16x16x32_fp8_fp8 v[12:15], a[142:143], a[6:7], v[12:15]// 00000000D848: D3F3000C 1C320D8E
	v_fma_f32 v60, v8, v4, v60                                 // 00000000D850: D1CB003C 04F20908
	v_fma_f32 v61, v9, v4, v61                                 // 00000000D858: D1CB003D 04F60909
	v_fma_f32 v62, v10, v4, v62                                // 00000000D860: D1CB003E 04FA090A
	v_fma_f32 v63, v11, v4, v63                                // 00000000D868: D1CB003F 04FE090B
	v_mul_f32_dpp v6, v25, v38 row_newbcast:1 row_mask:0xf bank_mask:0xf// 00000000D870: 0A0C4CFA FF015119
	v_mfma_f32_16x16x32_fp8_fp8 v[8:11], a[144:145], a[0:1], 0 // 00000000D878: D3F30008 1A020190
	buffer_load_dwordx4 a[104:107], v55, s[24:27], 0 offen     // 00000000D880: E05C1000 80866837
	v_mfma_f32_16x16x32_fp8_fp8 v[8:11], a[146:147], a[2:3], v[8:11]// 00000000D888: D3F30008 1C220592
	v_mfma_f32_16x16x32_fp8_fp8 v[8:11], a[148:149], a[4:5], v[8:11]// 00000000D890: D3F30008 1C220994
	v_mfma_f32_16x16x32_fp8_fp8 v[8:11], a[150:151], a[6:7], v[8:11]// 00000000D898: D3F30008 1C220D96
	v_fma_f32 v76, v12, v4, v76                                // 00000000D8A0: D1CB004C 0532090C
	v_fma_f32 v77, v13, v4, v77                                // 00000000D8A8: D1CB004D 0536090D
	v_fma_f32 v78, v14, v4, v78                                // 00000000D8B0: D1CB004E 053A090E
	v_fma_f32 v79, v15, v4, v79                                // 00000000D8B8: D1CB004F 053E090F
	v_mfma_f32_16x16x32_fp8_fp8 v[12:15], a[152:153], a[0:1], 0// 00000000D8C0: D3F3000C 1A020198
	buffer_load_dwordx4 a[108:111], v55, s[24:27], 0 offen offset:1024// 00000000D8C8: E05C1400 80866C37
	v_mfma_f32_16x16x32_fp8_fp8 v[12:15], a[154:155], a[2:3], v[12:15]// 00000000D8D0: D3F3000C 1C32059A
	v_mfma_f32_16x16x32_fp8_fp8 v[12:15], a[156:157], a[4:5], v[12:15]// 00000000D8D8: D3F3000C 1C32099C
	v_mfma_f32_16x16x32_fp8_fp8 v[12:15], a[158:159], a[6:7], v[12:15]// 00000000D8E0: D3F3000C 1C320D9E
	v_fma_f32 v92, v8, v6, v92                                 // 00000000D8E8: D1CB005C 05720D08
	v_fma_f32 v93, v9, v6, v93                                 // 00000000D8F0: D1CB005D 05760D09
	v_fma_f32 v94, v10, v6, v94                                // 00000000D8F8: D1CB005E 057A0D0A
	v_fma_f32 v95, v11, v6, v95                                // 00000000D900: D1CB005F 057E0D0B
	v_mul_f32_dpp v4, v25, v39 row_newbcast:0 row_mask:0xf bank_mask:0xf// 00000000D908: 0A084EFA FF015019
	v_mfma_f32_16x16x32_fp8_fp8 v[8:11], a[128:129], a[8:9], 0 // 00000000D910: D3F30008 1A021180
	buffer_load_dwordx4 a[112:115], v56, s[24:27], 0 offen     // 00000000D918: E05C1000 80867038
	v_mfma_f32_16x16x32_fp8_fp8 v[8:11], a[130:131], a[10:11], v[8:11]// 00000000D920: D3F30008 1C221582
	v_mfma_f32_16x16x32_fp8_fp8 v[8:11], a[132:133], a[12:13], v[8:11]// 00000000D928: D3F30008 1C221984
	v_mfma_f32_16x16x32_fp8_fp8 v[8:11], a[134:135], a[14:15], v[8:11]// 00000000D930: D3F30008 1C221D86
	v_fma_f32 v108, v12, v6, v108                              // 00000000D938: D1CB006C 05B20D0C
	v_fma_f32 v109, v13, v6, v109                              // 00000000D940: D1CB006D 05B60D0D
	v_fma_f32 v110, v14, v6, v110                              // 00000000D948: D1CB006E 05BA0D0E
	v_fma_f32 v111, v15, v6, v111                              // 00000000D950: D1CB006F 05BE0D0F
	v_mfma_f32_16x16x32_fp8_fp8 v[12:15], a[136:137], a[8:9], 0// 00000000D958: D3F3000C 1A021188
	buffer_load_dwordx4 a[116:119], v56, s[24:27], 0 offen offset:1024// 00000000D960: E05C1400 80867438
	v_mfma_f32_16x16x32_fp8_fp8 v[12:15], a[138:139], a[10:11], v[12:15]// 00000000D968: D3F3000C 1C32158A
	v_mfma_f32_16x16x32_fp8_fp8 v[12:15], a[140:141], a[12:13], v[12:15]// 00000000D970: D3F3000C 1C32198C
	v_mfma_f32_16x16x32_fp8_fp8 v[12:15], a[142:143], a[14:15], v[12:15]// 00000000D978: D3F3000C 1C321D8E
	v_fma_f32 v64, v8, v4, v64                                 // 00000000D980: D1CB0040 05020908
	v_fma_f32 v65, v9, v4, v65                                 // 00000000D988: D1CB0041 05060909
	v_fma_f32 v66, v10, v4, v66                                // 00000000D990: D1CB0042 050A090A
	v_fma_f32 v67, v11, v4, v67                                // 00000000D998: D1CB0043 050E090B
	v_mul_f32_dpp v6, v25, v39 row_newbcast:1 row_mask:0xf bank_mask:0xf// 00000000D9A0: 0A0C4EFA FF015119
	v_mfma_f32_16x16x32_fp8_fp8 v[8:11], a[144:145], a[8:9], 0 // 00000000D9A8: D3F30008 1A021190
	buffer_load_dwordx4 a[120:123], v57, s[24:27], 0 offen     // 00000000D9B0: E05C1000 80867839
	v_mfma_f32_16x16x32_fp8_fp8 v[8:11], a[146:147], a[10:11], v[8:11]// 00000000D9B8: D3F30008 1C221592
	v_mfma_f32_16x16x32_fp8_fp8 v[8:11], a[148:149], a[12:13], v[8:11]// 00000000D9C0: D3F30008 1C221994
	v_mfma_f32_16x16x32_fp8_fp8 v[8:11], a[150:151], a[14:15], v[8:11]// 00000000D9C8: D3F30008 1C221D96
	v_fma_f32 v80, v12, v4, v80                                // 00000000D9D0: D1CB0050 0542090C
	v_fma_f32 v81, v13, v4, v81                                // 00000000D9D8: D1CB0051 0546090D
	v_fma_f32 v82, v14, v4, v82                                // 00000000D9E0: D1CB0052 054A090E
	v_fma_f32 v83, v15, v4, v83                                // 00000000D9E8: D1CB0053 054E090F
	v_mfma_f32_16x16x32_fp8_fp8 v[12:15], a[152:153], a[8:9], 0// 00000000D9F0: D3F3000C 1A021198
	buffer_load_dwordx4 a[124:127], v57, s[24:27], 0 offen offset:1024// 00000000D9F8: E05C1400 80867C39
	buffer_load_dword v46, s[20:23], 0 offen lds               // 00000000DA00: E0511000 8005002E
	s_add_u32 m0, 0x100, s48                                   // 00000000DA08: 807C30FF 00000100
	v_mfma_f32_16x16x32_fp8_fp8 v[12:15], a[154:155], a[10:11], v[12:15]// 00000000DA10: D3F3000C 1C32159A
	v_mfma_f32_16x16x32_fp8_fp8 v[12:15], a[156:157], a[12:13], v[12:15]// 00000000DA18: D3F3000C 1C32199C
	buffer_load_dword v47, s[20:23], 0 offen lds               // 00000000DA20: E0511000 8005002F
	s_add_u32 m0, 0x200, s48                                   // 00000000DA28: 807C30FF 00000200
	v_mfma_f32_16x16x32_fp8_fp8 v[12:15], a[158:159], a[14:15], v[12:15]// 00000000DA30: D3F3000C 1C321D9E
	v_fma_f32 v96, v8, v6, v96                                 // 00000000DA38: D1CB0060 05820D08
	v_fma_f32 v97, v9, v6, v97                                 // 00000000DA40: D1CB0061 05860D09
	v_fma_f32 v98, v10, v6, v98                                // 00000000DA48: D1CB0062 058A0D0A
	v_fma_f32 v99, v11, v6, v99                                // 00000000DA50: D1CB0063 058E0D0B
	v_mul_f32_dpp v4, v25, v40 row_newbcast:0 row_mask:0xf bank_mask:0xf// 00000000DA58: 0A0850FA FF015019
	v_mfma_f32_16x16x32_fp8_fp8 v[8:11], a[128:129], a[16:17], 0// 00000000DA60: D3F30008 1A022180
	buffer_load_dword v48, s[20:23], 0 offen lds               // 00000000DA68: E0511000 80050030
	s_add_u32 m0, 0x300, s48                                   // 00000000DA70: 807C30FF 00000300
	v_mfma_f32_16x16x32_fp8_fp8 v[8:11], a[130:131], a[18:19], v[8:11]// 00000000DA78: D3F30008 1C222582
	v_mfma_f32_16x16x32_fp8_fp8 v[8:11], a[132:133], a[20:21], v[8:11]// 00000000DA80: D3F30008 1C222984
	buffer_load_dword v49, s[20:23], 0 offen lds               // 00000000DA88: E0511000 80050031
	s_add_u32 m0, 0x400, s48                                   // 00000000DA90: 807C30FF 00000400
	v_mfma_f32_16x16x32_fp8_fp8 v[8:11], a[134:135], a[22:23], v[8:11]// 00000000DA98: D3F30008 1C222D86
	v_fma_f32 v112, v12, v6, v112                              // 00000000DAA0: D1CB0070 05C20D0C
	v_fma_f32 v113, v13, v6, v113                              // 00000000DAA8: D1CB0071 05C60D0D
	v_fma_f32 v114, v14, v6, v114                              // 00000000DAB0: D1CB0072 05CA0D0E
	v_fma_f32 v115, v15, v6, v115                              // 00000000DAB8: D1CB0073 05CE0D0F
	v_mfma_f32_16x16x32_fp8_fp8 v[12:15], a[136:137], a[16:17], 0// 00000000DAC0: D3F3000C 1A022188
	buffer_load_dword v50, s[20:23], 0 offen lds               // 00000000DAC8: E0511000 80050032
	s_add_u32 m0, 0x500, s48                                   // 00000000DAD0: 807C30FF 00000500
	v_mfma_f32_16x16x32_fp8_fp8 v[12:15], a[138:139], a[18:19], v[12:15]// 00000000DAD8: D3F3000C 1C32258A
	v_mfma_f32_16x16x32_fp8_fp8 v[12:15], a[140:141], a[20:21], v[12:15]// 00000000DAE0: D3F3000C 1C32298C
	buffer_load_dword v51, s[20:23], 0 offen lds               // 00000000DAE8: E0511000 80050033
	s_add_u32 m0, 0x600, s48                                   // 00000000DAF0: 807C30FF 00000600
	v_mfma_f32_16x16x32_fp8_fp8 v[12:15], a[142:143], a[22:23], v[12:15]// 00000000DAF8: D3F3000C 1C322D8E
	v_fma_f32 v68, v8, v4, v68                                 // 00000000DB00: D1CB0044 05120908
	v_fma_f32 v69, v9, v4, v69                                 // 00000000DB08: D1CB0045 05160909
	v_fma_f32 v70, v10, v4, v70                                // 00000000DB10: D1CB0046 051A090A
	v_fma_f32 v71, v11, v4, v71                                // 00000000DB18: D1CB0047 051E090B
	v_mul_f32_dpp v6, v25, v40 row_newbcast:1 row_mask:0xf bank_mask:0xf// 00000000DB20: 0A0C50FA FF015119
	v_mfma_f32_16x16x32_fp8_fp8 v[8:11], a[144:145], a[16:17], 0// 00000000DB28: D3F30008 1A022190
	buffer_load_dword v52, s[20:23], 0 offen lds               // 00000000DB30: E0511000 80050034
	s_add_u32 m0, 0x700, s48                                   // 00000000DB38: 807C30FF 00000700
	v_mfma_f32_16x16x32_fp8_fp8 v[8:11], a[146:147], a[18:19], v[8:11]// 00000000DB40: D3F30008 1C222592
	v_mfma_f32_16x16x32_fp8_fp8 v[8:11], a[148:149], a[20:21], v[8:11]// 00000000DB48: D3F30008 1C222994
	buffer_load_dword v53, s[20:23], 0 offen lds               // 00000000DB50: E0511000 80050035
	s_add_u32 m0, 0, s49                                       // 00000000DB58: 807C3180
	v_mfma_f32_16x16x32_fp8_fp8 v[8:11], a[150:151], a[22:23], v[8:11]// 00000000DB5C: D3F30008 1C222D96
	v_fma_f32 v84, v12, v4, v84                                // 00000000DB64: D1CB0054 0552090C
	v_fma_f32 v85, v13, v4, v85                                // 00000000DB6C: D1CB0055 0556090D
	v_fma_f32 v86, v14, v4, v86                                // 00000000DB74: D1CB0056 055A090E
	v_fma_f32 v87, v15, v4, v87                                // 00000000DB7C: D1CB0057 055E090F
	v_mfma_f32_16x16x32_fp8_fp8 v[12:15], a[152:153], a[16:17], 0// 00000000DB84: D3F3000C 1A022198
	buffer_load_dword v34, v30, s[28:31], 0 offen              // 00000000DB8C: E0501000 8007221E
	v_mfma_f32_16x16x32_fp8_fp8 v[12:15], a[154:155], a[18:19], v[12:15]// 00000000DB94: D3F3000C 1C32259A
	v_mfma_f32_16x16x32_fp8_fp8 v[12:15], a[156:157], a[20:21], v[12:15]// 00000000DB9C: D3F3000C 1C32299C
	buffer_load_dword v35, v31, s[28:31], 0 offen              // 00000000DBA4: E0501000 8007231F
	v_mfma_f32_16x16x32_fp8_fp8 v[12:15], a[158:159], a[22:23], v[12:15]// 00000000DBAC: D3F3000C 1C322D9E
	v_fma_f32 v100, v8, v6, v100                               // 00000000DBB4: D1CB0064 05920D08
	v_fma_f32 v101, v9, v6, v101                               // 00000000DBBC: D1CB0065 05960D09
	v_fma_f32 v102, v10, v6, v102                              // 00000000DBC4: D1CB0066 059A0D0A
	v_fma_f32 v103, v11, v6, v103                              // 00000000DBCC: D1CB0067 059E0D0B
	v_mul_f32_dpp v4, v25, v41 row_newbcast:0 row_mask:0xf bank_mask:0xf// 00000000DBD4: 0A0852FA FF015019
	v_mfma_f32_16x16x32_fp8_fp8 v[8:11], a[128:129], a[24:25], 0// 00000000DBDC: D3F30008 1A023180
	buffer_load_dword v36, v32, s[28:31], 0 offen              // 00000000DBE4: E0501000 80072420
	v_mfma_f32_16x16x32_fp8_fp8 v[8:11], a[130:131], a[26:27], v[8:11]// 00000000DBEC: D3F30008 1C223582
	v_mfma_f32_16x16x32_fp8_fp8 v[8:11], a[132:133], a[28:29], v[8:11]// 00000000DBF4: D3F30008 1C223984
	buffer_load_dword v37, v33, s[28:31], 0 offen              // 00000000DBFC: E0501000 80072521
	v_mfma_f32_16x16x32_fp8_fp8 v[8:11], a[134:135], a[30:31], v[8:11]// 00000000DC04: D3F30008 1C223D86
	v_fma_f32 v116, v12, v6, v116                              // 00000000DC0C: D1CB0074 05D20D0C
	v_fma_f32 v117, v13, v6, v117                              // 00000000DC14: D1CB0075 05D60D0D
	v_fma_f32 v118, v14, v6, v118                              // 00000000DC1C: D1CB0076 05DA0D0E
	v_fma_f32 v119, v15, v6, v119                              // 00000000DC24: D1CB0077 05DE0D0F
	v_mfma_f32_16x16x32_fp8_fp8 v[12:15], a[136:137], a[24:25], 0// 00000000DC2C: D3F3000C 1A023188
	v_mfma_f32_16x16x32_fp8_fp8 v[12:15], a[138:139], a[26:27], v[12:15]// 00000000DC34: D3F3000C 1C32358A
	v_mfma_f32_16x16x32_fp8_fp8 v[12:15], a[140:141], a[28:29], v[12:15]// 00000000DC3C: D3F3000C 1C32398C
	v_mfma_f32_16x16x32_fp8_fp8 v[12:15], a[142:143], a[30:31], v[12:15]// 00000000DC44: D3F3000C 1C323D8E
	v_fma_f32 v72, v8, v4, v72                                 // 00000000DC4C: D1CB0048 05220908
	v_fma_f32 v73, v9, v4, v73                                 // 00000000DC54: D1CB0049 05260909
	v_fma_f32 v74, v10, v4, v74                                // 00000000DC5C: D1CB004A 052A090A
	v_fma_f32 v75, v11, v4, v75                                // 00000000DC64: D1CB004B 052E090B
	v_mul_f32_dpp v6, v25, v41 row_newbcast:1 row_mask:0xf bank_mask:0xf// 00000000DC6C: 0A0C52FA FF015119
	v_mfma_f32_16x16x32_fp8_fp8 v[8:11], a[144:145], a[24:25], 0// 00000000DC74: D3F30008 1A023190
	v_mfma_f32_16x16x32_fp8_fp8 v[8:11], a[146:147], a[26:27], v[8:11]// 00000000DC7C: D3F30008 1C223592
	v_mfma_f32_16x16x32_fp8_fp8 v[8:11], a[148:149], a[28:29], v[8:11]// 00000000DC84: D3F30008 1C223994
	v_mfma_f32_16x16x32_fp8_fp8 v[8:11], a[150:151], a[30:31], v[8:11]// 00000000DC8C: D3F30008 1C223D96
	v_fma_f32 v88, v12, v4, v88                                // 00000000DC94: D1CB0058 0562090C
	v_fma_f32 v89, v13, v4, v89                                // 00000000DC9C: D1CB0059 0566090D
	v_fma_f32 v90, v14, v4, v90                                // 00000000DCA4: D1CB005A 056A090E
	v_fma_f32 v91, v15, v4, v91                                // 00000000DCAC: D1CB005B 056E090F
	v_mfma_f32_16x16x32_fp8_fp8 v[12:15], a[152:153], a[24:25], 0// 00000000DCB4: D3F3000C 1A023198
	v_mfma_f32_16x16x32_fp8_fp8 v[12:15], a[154:155], a[26:27], v[12:15]// 00000000DCBC: D3F3000C 1C32359A
	v_mfma_f32_16x16x32_fp8_fp8 v[12:15], a[156:157], a[28:29], v[12:15]// 00000000DCC4: D3F3000C 1C32399C
	v_mfma_f32_16x16x32_fp8_fp8 v[12:15], a[158:159], a[30:31], v[12:15]// 00000000DCCC: D3F3000C 1C323D9E
	v_fma_f32 v104, v8, v6, v104                               // 00000000DCD4: D1CB0068 05A20D08
	v_fma_f32 v105, v9, v6, v105                               // 00000000DCDC: D1CB0069 05A60D09
	v_fma_f32 v106, v10, v6, v106                              // 00000000DCE4: D1CB006A 05AA0D0A
	v_fma_f32 v107, v11, v6, v107                              // 00000000DCEC: D1CB006B 05AE0D0B
	v_fma_f32 v120, v12, v6, v120                              // 00000000DCF4: D1CB0078 05E20D0C
	v_fma_f32 v121, v13, v6, v121                              // 00000000DCFC: D1CB0079 05E60D0D
	v_fma_f32 v122, v14, v6, v122                              // 00000000DD04: D1CB007A 05EA0D0E
	v_fma_f32 v123, v15, v6, v123                              // 00000000DD0C: D1CB007B 05EE0D0F
	s_waitcnt vmcnt(21)                                        // 00000000DD14: BF8C4F75
	s_barrier                                                  // 00000000DD18: BF8A0000
	v_mul_f32_dpp v4, v28, v38 row_newbcast:0 row_mask:0xf bank_mask:0xf// 00000000DD1C: 0A084CFA FF01501C
	v_mfma_f32_16x16x32_fp8_fp8 v[8:11], a[64:65], a[0:1], 0   // 00000000DD24: D3F30008 1A020140
	buffer_load_dword v29, v23, s[32:35], 0 offen              // 00000000DD2C: E0501000 80081D17
	buffer_load_dwordx4 a[128:131], v54, s[84:87], 0 offen     // 00000000DD34: E05C1000 80958036
	v_mfma_f32_16x16x32_fp8_fp8 v[8:11], a[66:67], a[2:3], v[8:11]// 00000000DD3C: D3F30008 1C220542
	v_mfma_f32_16x16x32_fp8_fp8 v[8:11], a[68:69], a[4:5], v[8:11]// 00000000DD44: D3F30008 1C220944
	ds_read_b128 a[32:35], v2 offset:16640                     // 00000000DD4C: DBFE4100 20000002
	ds_read_b128 a[36:39], v2 offset:16704                     // 00000000DD54: DBFE4140 24000002
	v_mfma_f32_16x16x32_fp8_fp8 v[8:11], a[70:71], a[6:7], v[8:11]// 00000000DD5C: D3F30008 1C220D46
	v_mfma_f32_16x16x32_fp8_fp8 v[12:15], a[72:73], a[0:1], 0  // 00000000DD64: D3F3000C 1A020148
	buffer_load_dwordx4 a[132:135], v54, s[84:87], 0 offen offset:1024// 00000000DD6C: E05C1400 80958436
	v_mfma_f32_16x16x32_fp8_fp8 v[12:15], a[74:75], a[2:3], v[12:15]// 00000000DD74: D3F3000C 1C32054A
	v_mfma_f32_16x16x32_fp8_fp8 v[12:15], a[76:77], a[4:5], v[12:15]// 00000000DD7C: D3F3000C 1C32094C
	ds_read_b128 a[40:43], v2 offset:17152                     // 00000000DD84: DBFE4300 28000002
	ds_read_b128 a[44:47], v2 offset:17216                     // 00000000DD8C: DBFE4340 2C000002
	v_mfma_f32_16x16x32_fp8_fp8 v[12:15], a[78:79], a[6:7], v[12:15]// 00000000DD94: D3F3000C 1C320D4E
	v_fma_f32 v124, v8, v4, v124                               // 00000000DD9C: D1CB007C 05F20908
	v_fma_f32 v125, v9, v4, v125                               // 00000000DDA4: D1CB007D 05F60909
	v_fma_f32 v126, v10, v4, v126                              // 00000000DDAC: D1CB007E 05FA090A
	v_fma_f32 v127, v11, v4, v127                              // 00000000DDB4: D1CB007F 05FE090B
	v_mul_f32_dpp v6, v28, v38 row_newbcast:1 row_mask:0xf bank_mask:0xf// 00000000DDBC: 0A0C4CFA FF01511C
	v_mfma_f32_16x16x32_fp8_fp8 v[8:11], a[80:81], a[0:1], 0   // 00000000DDC4: D3F30008 1A020150
	buffer_load_dwordx4 a[136:139], v55, s[84:87], 0 offen     // 00000000DDCC: E05C1000 80958837
	v_mfma_f32_16x16x32_fp8_fp8 v[8:11], a[82:83], a[2:3], v[8:11]// 00000000DDD4: D3F30008 1C220552
	v_mfma_f32_16x16x32_fp8_fp8 v[8:11], a[84:85], a[4:5], v[8:11]// 00000000DDDC: D3F30008 1C220954
	ds_read_b128 a[48:51], v2 offset:17664                     // 00000000DDE4: DBFE4500 30000002
	ds_read_b128 a[52:55], v2 offset:17728                     // 00000000DDEC: DBFE4540 34000002
	v_mfma_f32_16x16x32_fp8_fp8 v[8:11], a[86:87], a[6:7], v[8:11]// 00000000DDF4: D3F30008 1C220D56
	v_fma_f32 v140, v12, v4, v140                              // 00000000DDFC: D1CB008C 0632090C
	v_fma_f32 v141, v13, v4, v141                              // 00000000DE04: D1CB008D 0636090D
	v_fma_f32 v142, v14, v4, v142                              // 00000000DE0C: D1CB008E 063A090E
	v_fma_f32 v143, v15, v4, v143                              // 00000000DE14: D1CB008F 063E090F
	v_mfma_f32_16x16x32_fp8_fp8 v[12:15], a[88:89], a[0:1], 0  // 00000000DE1C: D3F3000C 1A020158
	buffer_load_dwordx4 a[140:143], v55, s[84:87], 0 offen offset:1024// 00000000DE24: E05C1400 80958C37
	v_mfma_f32_16x16x32_fp8_fp8 v[12:15], a[90:91], a[2:3], v[12:15]// 00000000DE2C: D3F3000C 1C32055A
	v_mfma_f32_16x16x32_fp8_fp8 v[12:15], a[92:93], a[4:5], v[12:15]// 00000000DE34: D3F3000C 1C32095C
	ds_read_b128 a[56:59], v2 offset:18176                     // 00000000DE3C: DBFE4700 38000002
	ds_read_b128 a[60:63], v2 offset:18240                     // 00000000DE44: DBFE4740 3C000002
	v_mfma_f32_16x16x32_fp8_fp8 v[12:15], a[94:95], a[6:7], v[12:15]// 00000000DE4C: D3F3000C 1C320D5E
	v_fma_f32 v156, v8, v6, v156                               // 00000000DE54: D1CB009C 06720D08
	v_fma_f32 v157, v9, v6, v157                               // 00000000DE5C: D1CB009D 06760D09
	v_fma_f32 v158, v10, v6, v158                              // 00000000DE64: D1CB009E 067A0D0A
	v_fma_f32 v159, v11, v6, v159                              // 00000000DE6C: D1CB009F 067E0D0B
	v_mul_f32_dpp v4, v28, v39 row_newbcast:0 row_mask:0xf bank_mask:0xf// 00000000DE74: 0A084EFA FF01501C
	v_mfma_f32_16x16x32_fp8_fp8 v[8:11], a[64:65], a[8:9], 0   // 00000000DE7C: D3F30008 1A021140
	buffer_load_dwordx4 a[144:147], v56, s[84:87], 0 offen     // 00000000DE84: E05C1000 80959038
	v_mfma_f32_16x16x32_fp8_fp8 v[8:11], a[66:67], a[10:11], v[8:11]// 00000000DE8C: D3F30008 1C221542
	v_mfma_f32_16x16x32_fp8_fp8 v[8:11], a[68:69], a[12:13], v[8:11]// 00000000DE94: D3F30008 1C221944
	v_mfma_f32_16x16x32_fp8_fp8 v[8:11], a[70:71], a[14:15], v[8:11]// 00000000DE9C: D3F30008 1C221D46
	v_fma_f32 v172, v12, v6, v172                              // 00000000DEA4: D1CB00AC 06B20D0C
	v_fma_f32 v173, v13, v6, v173                              // 00000000DEAC: D1CB00AD 06B60D0D
	v_fma_f32 v174, v14, v6, v174                              // 00000000DEB4: D1CB00AE 06BA0D0E
	v_fma_f32 v175, v15, v6, v175                              // 00000000DEBC: D1CB00AF 06BE0D0F
	v_mfma_f32_16x16x32_fp8_fp8 v[12:15], a[72:73], a[8:9], 0  // 00000000DEC4: D3F3000C 1A021148
	buffer_load_dwordx4 a[148:151], v56, s[84:87], 0 offen offset:1024// 00000000DECC: E05C1400 80959438
	v_mfma_f32_16x16x32_fp8_fp8 v[12:15], a[74:75], a[10:11], v[12:15]// 00000000DED4: D3F3000C 1C32154A
	v_mfma_f32_16x16x32_fp8_fp8 v[12:15], a[76:77], a[12:13], v[12:15]// 00000000DEDC: D3F3000C 1C32194C
	v_mfma_f32_16x16x32_fp8_fp8 v[12:15], a[78:79], a[14:15], v[12:15]// 00000000DEE4: D3F3000C 1C321D4E
	v_fma_f32 v128, v8, v4, v128                               // 00000000DEEC: D1CB0080 06020908
	v_fma_f32 v129, v9, v4, v129                               // 00000000DEF4: D1CB0081 06060909
	v_fma_f32 v130, v10, v4, v130                              // 00000000DEFC: D1CB0082 060A090A
	v_fma_f32 v131, v11, v4, v131                              // 00000000DF04: D1CB0083 060E090B
	v_mul_f32_dpp v6, v28, v39 row_newbcast:1 row_mask:0xf bank_mask:0xf// 00000000DF0C: 0A0C4EFA FF01511C
	v_mfma_f32_16x16x32_fp8_fp8 v[8:11], a[80:81], a[8:9], 0   // 00000000DF14: D3F30008 1A021150
	buffer_load_dwordx4 a[152:155], v57, s[84:87], 0 offen     // 00000000DF1C: E05C1000 80959839
	v_mfma_f32_16x16x32_fp8_fp8 v[8:11], a[82:83], a[10:11], v[8:11]// 00000000DF24: D3F30008 1C221552
	v_mfma_f32_16x16x32_fp8_fp8 v[8:11], a[84:85], a[12:13], v[8:11]// 00000000DF2C: D3F30008 1C221954
	v_mfma_f32_16x16x32_fp8_fp8 v[8:11], a[86:87], a[14:15], v[8:11]// 00000000DF34: D3F30008 1C221D56
	v_fma_f32 v144, v12, v4, v144                              // 00000000DF3C: D1CB0090 0642090C
	v_fma_f32 v145, v13, v4, v145                              // 00000000DF44: D1CB0091 0646090D
	v_fma_f32 v146, v14, v4, v146                              // 00000000DF4C: D1CB0092 064A090E
	v_fma_f32 v147, v15, v4, v147                              // 00000000DF54: D1CB0093 064E090F
	v_mfma_f32_16x16x32_fp8_fp8 v[12:15], a[88:89], a[8:9], 0  // 00000000DF5C: D3F3000C 1A021158
	buffer_load_dwordx4 a[156:159], v57, s[84:87], 0 offen offset:1024// 00000000DF64: E05C1400 80959C39
	v_mfma_f32_16x16x32_fp8_fp8 v[12:15], a[90:91], a[10:11], v[12:15]// 00000000DF6C: D3F3000C 1C32155A
	v_mfma_f32_16x16x32_fp8_fp8 v[12:15], a[92:93], a[12:13], v[12:15]// 00000000DF74: D3F3000C 1C32195C
	v_mfma_f32_16x16x32_fp8_fp8 v[12:15], a[94:95], a[14:15], v[12:15]// 00000000DF7C: D3F3000C 1C321D5E
	v_fma_f32 v160, v8, v6, v160                               // 00000000DF84: D1CB00A0 06820D08
	v_fma_f32 v161, v9, v6, v161                               // 00000000DF8C: D1CB00A1 06860D09
	v_fma_f32 v162, v10, v6, v162                              // 00000000DF94: D1CB00A2 068A0D0A
	v_fma_f32 v163, v11, v6, v163                              // 00000000DF9C: D1CB00A3 068E0D0B
	v_mul_f32_dpp v4, v28, v40 row_newbcast:0 row_mask:0xf bank_mask:0xf// 00000000DFA4: 0A0850FA FF01501C
	v_mfma_f32_16x16x32_fp8_fp8 v[8:11], a[64:65], a[16:17], 0 // 00000000DFAC: D3F30008 1A022140
	v_mfma_f32_16x16x32_fp8_fp8 v[8:11], a[66:67], a[18:19], v[8:11]// 00000000DFB4: D3F30008 1C222542
	v_mfma_f32_16x16x32_fp8_fp8 v[8:11], a[68:69], a[20:21], v[8:11]// 00000000DFBC: D3F30008 1C222944
	v_mfma_f32_16x16x32_fp8_fp8 v[8:11], a[70:71], a[22:23], v[8:11]// 00000000DFC4: D3F30008 1C222D46
	v_fma_f32 v176, v12, v6, v176                              // 00000000DFCC: D1CB00B0 06C20D0C
	v_fma_f32 v177, v13, v6, v177                              // 00000000DFD4: D1CB00B1 06C60D0D
	v_fma_f32 v178, v14, v6, v178                              // 00000000DFDC: D1CB00B2 06CA0D0E
	v_fma_f32 v179, v15, v6, v179                              // 00000000DFE4: D1CB00B3 06CE0D0F
	v_mfma_f32_16x16x32_fp8_fp8 v[12:15], a[72:73], a[16:17], 0// 00000000DFEC: D3F3000C 1A022148
	v_mfma_f32_16x16x32_fp8_fp8 v[12:15], a[74:75], a[18:19], v[12:15]// 00000000DFF4: D3F3000C 1C32254A
	v_mfma_f32_16x16x32_fp8_fp8 v[12:15], a[76:77], a[20:21], v[12:15]// 00000000DFFC: D3F3000C 1C32294C
	v_mfma_f32_16x16x32_fp8_fp8 v[12:15], a[78:79], a[22:23], v[12:15]// 00000000E004: D3F3000C 1C322D4E
	v_fma_f32 v132, v8, v4, v132                               // 00000000E00C: D1CB0084 06120908
	v_fma_f32 v133, v9, v4, v133                               // 00000000E014: D1CB0085 06160909
	v_fma_f32 v134, v10, v4, v134                              // 00000000E01C: D1CB0086 061A090A
	v_fma_f32 v135, v11, v4, v135                              // 00000000E024: D1CB0087 061E090B
	v_mul_f32_dpp v6, v28, v40 row_newbcast:1 row_mask:0xf bank_mask:0xf// 00000000E02C: 0A0C50FA FF01511C
	v_mfma_f32_16x16x32_fp8_fp8 v[8:11], a[80:81], a[16:17], 0 // 00000000E034: D3F30008 1A022150
	v_mfma_f32_16x16x32_fp8_fp8 v[8:11], a[82:83], a[18:19], v[8:11]// 00000000E03C: D3F30008 1C222552
	v_mfma_f32_16x16x32_fp8_fp8 v[8:11], a[84:85], a[20:21], v[8:11]// 00000000E044: D3F30008 1C222954
	v_mfma_f32_16x16x32_fp8_fp8 v[8:11], a[86:87], a[22:23], v[8:11]// 00000000E04C: D3F30008 1C222D56
	v_fma_f32 v148, v12, v4, v148                              // 00000000E054: D1CB0094 0652090C
	v_fma_f32 v149, v13, v4, v149                              // 00000000E05C: D1CB0095 0656090D
	v_fma_f32 v150, v14, v4, v150                              // 00000000E064: D1CB0096 065A090E
	v_fma_f32 v151, v15, v4, v151                              // 00000000E06C: D1CB0097 065E090F
	v_mfma_f32_16x16x32_fp8_fp8 v[12:15], a[88:89], a[16:17], 0// 00000000E074: D3F3000C 1A022158
	v_mfma_f32_16x16x32_fp8_fp8 v[12:15], a[90:91], a[18:19], v[12:15]// 00000000E07C: D3F3000C 1C32255A
	v_mfma_f32_16x16x32_fp8_fp8 v[12:15], a[92:93], a[20:21], v[12:15]// 00000000E084: D3F3000C 1C32295C
	v_mfma_f32_16x16x32_fp8_fp8 v[12:15], a[94:95], a[22:23], v[12:15]// 00000000E08C: D3F3000C 1C322D5E
	v_fma_f32 v164, v8, v6, v164                               // 00000000E094: D1CB00A4 06920D08
	v_fma_f32 v165, v9, v6, v165                               // 00000000E09C: D1CB00A5 06960D09
	v_fma_f32 v166, v10, v6, v166                              // 00000000E0A4: D1CB00A6 069A0D0A
	v_fma_f32 v167, v11, v6, v167                              // 00000000E0AC: D1CB00A7 069E0D0B
	v_mul_f32_dpp v4, v28, v41 row_newbcast:0 row_mask:0xf bank_mask:0xf// 00000000E0B4: 0A0852FA FF01501C
	v_mfma_f32_16x16x32_fp8_fp8 v[8:11], a[64:65], a[24:25], 0 // 00000000E0BC: D3F30008 1A023140
	v_mfma_f32_16x16x32_fp8_fp8 v[8:11], a[66:67], a[26:27], v[8:11]// 00000000E0C4: D3F30008 1C223542
	v_mfma_f32_16x16x32_fp8_fp8 v[8:11], a[68:69], a[28:29], v[8:11]// 00000000E0CC: D3F30008 1C223944
	v_mfma_f32_16x16x32_fp8_fp8 v[8:11], a[70:71], a[30:31], v[8:11]// 00000000E0D4: D3F30008 1C223D46
	v_fma_f32 v180, v12, v6, v180                              // 00000000E0DC: D1CB00B4 06D20D0C
	v_fma_f32 v181, v13, v6, v181                              // 00000000E0E4: D1CB00B5 06D60D0D
	v_fma_f32 v182, v14, v6, v182                              // 00000000E0EC: D1CB00B6 06DA0D0E
	v_fma_f32 v183, v15, v6, v183                              // 00000000E0F4: D1CB00B7 06DE0D0F
	v_mfma_f32_16x16x32_fp8_fp8 v[12:15], a[72:73], a[24:25], 0// 00000000E0FC: D3F3000C 1A023148
	v_mfma_f32_16x16x32_fp8_fp8 v[12:15], a[74:75], a[26:27], v[12:15]// 00000000E104: D3F3000C 1C32354A
	v_mfma_f32_16x16x32_fp8_fp8 v[12:15], a[76:77], a[28:29], v[12:15]// 00000000E10C: D3F3000C 1C32394C
	v_mfma_f32_16x16x32_fp8_fp8 v[12:15], a[78:79], a[30:31], v[12:15]// 00000000E114: D3F3000C 1C323D4E
	v_fma_f32 v136, v8, v4, v136                               // 00000000E11C: D1CB0088 06220908
	v_fma_f32 v137, v9, v4, v137                               // 00000000E124: D1CB0089 06260909
	v_fma_f32 v138, v10, v4, v138                              // 00000000E12C: D1CB008A 062A090A
	v_fma_f32 v139, v11, v4, v139                              // 00000000E134: D1CB008B 062E090B
	v_mul_f32_dpp v6, v28, v41 row_newbcast:1 row_mask:0xf bank_mask:0xf// 00000000E13C: 0A0C52FA FF01511C
	v_mfma_f32_16x16x32_fp8_fp8 v[8:11], a[80:81], a[24:25], 0 // 00000000E144: D3F30008 1A023150
	s_add_u32 s60, 0x180, s80                                  // 00000000E14C: 803C50FF 00000180
	s_cmp_lt_u32 s60, s81                                      // 00000000E154: BF0A513C
	s_cselect_b32 s57, s57, 0                                  // 00000000E158: 85398039
	s_cselect_b32 s3, s3, 0                                    // 00000000E15C: 85038003
	v_mfma_f32_16x16x32_fp8_fp8 v[8:11], a[82:83], a[26:27], v[8:11]// 00000000E160: D3F30008 1C223552
	s_add_u32 s60, 0x100, s80                                  // 00000000E168: 803C50FF 00000100
	s_cmp_lt_u32 s60, s81                                      // 00000000E170: BF0A513C
	s_cselect_b32 s58, s58, 0                                  // 00000000E174: 853A803A
	v_mfma_f32_16x16x32_fp8_fp8 v[8:11], a[84:85], a[28:29], v[8:11]// 00000000E178: D3F30008 1C223954
	s_add_u32 s60, 0x100, s80                                  // 00000000E180: 803C50FF 00000100
	s_cmp_lt_u32 s60, s81                                      // 00000000E188: BF0A513C
	s_cselect_b32 s83, s83, 0                                  // 00000000E18C: 85538053
	s_cselect_b32 s4, s4, 0                                    // 00000000E190: 85048004
	v_mfma_f32_16x16x32_fp8_fp8 v[8:11], a[86:87], a[30:31], v[8:11]// 00000000E194: D3F30008 1C223D56
	s_add_u32 s24, s58, s24                                    // 00000000E19C: 8018183A
	s_addc_u32 s25, 0, s25                                     // 00000000E1A0: 82191980
	v_fma_f32 v152, v12, v4, v152                              // 00000000E1A4: D1CB0098 0662090C
	v_fma_f32 v153, v13, v4, v153                              // 00000000E1AC: D1CB0099 0666090D
	v_fma_f32 v154, v14, v4, v154                              // 00000000E1B4: D1CB009A 066A090E
	v_fma_f32 v155, v15, v4, v155                              // 00000000E1BC: D1CB009B 066E090F
	v_mfma_f32_16x16x32_fp8_fp8 v[12:15], a[88:89], a[24:25], 0// 00000000E1C4: D3F3000C 1A023158
	s_add_u32 s20, s57, s20                                    // 00000000E1CC: 80141439
	s_addc_u32 s21, 0, s21                                     // 00000000E1D0: 82151580
	s_add_u32 s28, s3, s28                                     // 00000000E1D4: 801C1C03
	s_addc_u32 s29, 0, s29                                     // 00000000E1D8: 821D1D80
	v_mfma_f32_16x16x32_fp8_fp8 v[12:15], a[90:91], a[26:27], v[12:15]// 00000000E1DC: D3F3000C 1C32355A
	s_add_u32 s84, s83, s84                                    // 00000000E1E4: 80545453
	s_addc_u32 s85, 0, s85                                     // 00000000E1E8: 82555580
	v_mfma_f32_16x16x32_fp8_fp8 v[12:15], a[92:93], a[28:29], v[12:15]// 00000000E1EC: D3F3000C 1C32395C
	s_add_u32 s32, s4, s32                                     // 00000000E1F4: 80202004
	s_addc_u32 s33, 0, s33                                     // 00000000E1F8: 82212180
	v_mfma_f32_16x16x32_fp8_fp8 v[12:15], a[94:95], a[30:31], v[12:15]// 00000000E1FC: D3F3000C 1C323D5E
	v_fma_f32 v168, v8, v6, v168                               // 00000000E204: D1CB00A8 06A20D08
	v_fma_f32 v169, v9, v6, v169                               // 00000000E20C: D1CB00A9 06A60D09
	v_fma_f32 v170, v10, v6, v170                              // 00000000E214: D1CB00AA 06AA0D0A
	v_fma_f32 v171, v11, v6, v171                              // 00000000E21C: D1CB00AB 06AE0D0B
	v_fma_f32 v184, v12, v6, v184                              // 00000000E224: D1CB00B8 06E20D0C
	v_fma_f32 v185, v13, v6, v185                              // 00000000E22C: D1CB00B9 06E60D0D
	v_fma_f32 v186, v14, v6, v186                              // 00000000E234: D1CB00BA 06EA0D0E
	v_fma_f32 v187, v15, v6, v187                              // 00000000E23C: D1CB00BB 06EE0D0F
	s_addk_i32 s80, 0x80                                       // 00000000E244: B7500080
	s_cmp_lt_i32 s80, s81                                      // 00000000E248: BF045150
	s_cbranch_scc0 label_30B1                                  // 00000000E24C: BF84029A
	s_waitcnt vmcnt(21) lgkmcnt(0)                             // 00000000E250: BF8C4075
	v_mul_f32_dpp v4, v26, v42 row_newbcast:0 row_mask:0xf bank_mask:0xf// 00000000E254: 0A0854FA FF01501A
	v_mfma_f32_16x16x32_fp8_fp8 v[8:11], a[96:97], a[32:33], 0 // 00000000E25C: D3F30008 1A024160
	buffer_load_dword v24, v22, s[32:35], 0 offen              // 00000000E264: E0501000 80081816
	buffer_load_dwordx4 a[64:67], v54, s[24:27], 0 offen       // 00000000E26C: E05C1000 80864036
	v_mfma_f32_16x16x32_fp8_fp8 v[8:11], a[98:99], a[34:35], v[8:11]// 00000000E274: D3F30008 1C224562
	v_mfma_f32_16x16x32_fp8_fp8 v[8:11], a[100:101], a[36:37], v[8:11]// 00000000E27C: D3F30008 1C224964
	v_mfma_f32_16x16x32_fp8_fp8 v[8:11], a[102:103], a[38:39], v[8:11]// 00000000E284: D3F30008 1C224D66
	v_mfma_f32_16x16x32_fp8_fp8 v[12:15], a[104:105], a[32:33], 0// 00000000E28C: D3F3000C 1A024168
	buffer_load_dwordx4 a[68:71], v54, s[24:27], 0 offen offset:1024// 00000000E294: E05C1400 80864436
	v_mfma_f32_16x16x32_fp8_fp8 v[12:15], a[106:107], a[34:35], v[12:15]// 00000000E29C: D3F3000C 1C32456A
	v_mfma_f32_16x16x32_fp8_fp8 v[12:15], a[108:109], a[36:37], v[12:15]// 00000000E2A4: D3F3000C 1C32496C
	v_mfma_f32_16x16x32_fp8_fp8 v[12:15], a[110:111], a[38:39], v[12:15]// 00000000E2AC: D3F3000C 1C324D6E
	v_fma_f32 v60, v8, v4, v60                                 // 00000000E2B4: D1CB003C 04F20908
	v_fma_f32 v61, v9, v4, v61                                 // 00000000E2BC: D1CB003D 04F60909
	v_fma_f32 v62, v10, v4, v62                                // 00000000E2C4: D1CB003E 04FA090A
	v_fma_f32 v63, v11, v4, v63                                // 00000000E2CC: D1CB003F 04FE090B
	v_mul_f32_dpp v6, v26, v42 row_newbcast:1 row_mask:0xf bank_mask:0xf// 00000000E2D4: 0A0C54FA FF01511A
	v_mfma_f32_16x16x32_fp8_fp8 v[8:11], a[112:113], a[32:33], 0// 00000000E2DC: D3F30008 1A024170
	buffer_load_dwordx4 a[72:75], v55, s[24:27], 0 offen       // 00000000E2E4: E05C1000 80864837
	v_mfma_f32_16x16x32_fp8_fp8 v[8:11], a[114:115], a[34:35], v[8:11]// 00000000E2EC: D3F30008 1C224572
	v_mfma_f32_16x16x32_fp8_fp8 v[8:11], a[116:117], a[36:37], v[8:11]// 00000000E2F4: D3F30008 1C224974
	v_mfma_f32_16x16x32_fp8_fp8 v[8:11], a[118:119], a[38:39], v[8:11]// 00000000E2FC: D3F30008 1C224D76
	v_fma_f32 v76, v12, v4, v76                                // 00000000E304: D1CB004C 0532090C
	v_fma_f32 v77, v13, v4, v77                                // 00000000E30C: D1CB004D 0536090D
	v_fma_f32 v78, v14, v4, v78                                // 00000000E314: D1CB004E 053A090E
	v_fma_f32 v79, v15, v4, v79                                // 00000000E31C: D1CB004F 053E090F
	v_mfma_f32_16x16x32_fp8_fp8 v[12:15], a[120:121], a[32:33], 0// 00000000E324: D3F3000C 1A024178
	buffer_load_dwordx4 a[76:79], v55, s[24:27], 0 offen offset:1024// 00000000E32C: E05C1400 80864C37
	v_mfma_f32_16x16x32_fp8_fp8 v[12:15], a[122:123], a[34:35], v[12:15]// 00000000E334: D3F3000C 1C32457A
	v_mfma_f32_16x16x32_fp8_fp8 v[12:15], a[124:125], a[36:37], v[12:15]// 00000000E33C: D3F3000C 1C32497C
	v_mfma_f32_16x16x32_fp8_fp8 v[12:15], a[126:127], a[38:39], v[12:15]// 00000000E344: D3F3000C 1C324D7E
	v_fma_f32 v92, v8, v6, v92                                 // 00000000E34C: D1CB005C 05720D08
	v_fma_f32 v93, v9, v6, v93                                 // 00000000E354: D1CB005D 05760D09
	v_fma_f32 v94, v10, v6, v94                                // 00000000E35C: D1CB005E 057A0D0A
	v_fma_f32 v95, v11, v6, v95                                // 00000000E364: D1CB005F 057E0D0B
	v_mul_f32_dpp v4, v26, v43 row_newbcast:0 row_mask:0xf bank_mask:0xf// 00000000E36C: 0A0856FA FF01501A
	v_mfma_f32_16x16x32_fp8_fp8 v[8:11], a[96:97], a[40:41], 0 // 00000000E374: D3F30008 1A025160
	buffer_load_dwordx4 a[80:83], v56, s[24:27], 0 offen       // 00000000E37C: E05C1000 80865038
	v_mfma_f32_16x16x32_fp8_fp8 v[8:11], a[98:99], a[42:43], v[8:11]// 00000000E384: D3F30008 1C225562
	v_mfma_f32_16x16x32_fp8_fp8 v[8:11], a[100:101], a[44:45], v[8:11]// 00000000E38C: D3F30008 1C225964
	v_mfma_f32_16x16x32_fp8_fp8 v[8:11], a[102:103], a[46:47], v[8:11]// 00000000E394: D3F30008 1C225D66
	v_fma_f32 v108, v12, v6, v108                              // 00000000E39C: D1CB006C 05B20D0C
	v_fma_f32 v109, v13, v6, v109                              // 00000000E3A4: D1CB006D 05B60D0D
	v_fma_f32 v110, v14, v6, v110                              // 00000000E3AC: D1CB006E 05BA0D0E
	v_fma_f32 v111, v15, v6, v111                              // 00000000E3B4: D1CB006F 05BE0D0F
	v_mfma_f32_16x16x32_fp8_fp8 v[12:15], a[104:105], a[40:41], 0// 00000000E3BC: D3F3000C 1A025168
	buffer_load_dwordx4 a[84:87], v56, s[24:27], 0 offen offset:1024// 00000000E3C4: E05C1400 80865438
	v_mfma_f32_16x16x32_fp8_fp8 v[12:15], a[106:107], a[42:43], v[12:15]// 00000000E3CC: D3F3000C 1C32556A
	v_mfma_f32_16x16x32_fp8_fp8 v[12:15], a[108:109], a[44:45], v[12:15]// 00000000E3D4: D3F3000C 1C32596C
	v_mfma_f32_16x16x32_fp8_fp8 v[12:15], a[110:111], a[46:47], v[12:15]// 00000000E3DC: D3F3000C 1C325D6E
	v_fma_f32 v64, v8, v4, v64                                 // 00000000E3E4: D1CB0040 05020908
	v_fma_f32 v65, v9, v4, v65                                 // 00000000E3EC: D1CB0041 05060909
	v_fma_f32 v66, v10, v4, v66                                // 00000000E3F4: D1CB0042 050A090A
	v_fma_f32 v67, v11, v4, v67                                // 00000000E3FC: D1CB0043 050E090B
	v_mul_f32_dpp v6, v26, v43 row_newbcast:1 row_mask:0xf bank_mask:0xf// 00000000E404: 0A0C56FA FF01511A
	v_mfma_f32_16x16x32_fp8_fp8 v[8:11], a[112:113], a[40:41], 0// 00000000E40C: D3F30008 1A025170
	buffer_load_dwordx4 a[88:91], v57, s[24:27], 0 offen       // 00000000E414: E05C1000 80865839
	v_mfma_f32_16x16x32_fp8_fp8 v[8:11], a[114:115], a[42:43], v[8:11]// 00000000E41C: D3F30008 1C225572
	v_mfma_f32_16x16x32_fp8_fp8 v[8:11], a[116:117], a[44:45], v[8:11]// 00000000E424: D3F30008 1C225974
	v_mfma_f32_16x16x32_fp8_fp8 v[8:11], a[118:119], a[46:47], v[8:11]// 00000000E42C: D3F30008 1C225D76
	v_fma_f32 v80, v12, v4, v80                                // 00000000E434: D1CB0050 0542090C
	v_fma_f32 v81, v13, v4, v81                                // 00000000E43C: D1CB0051 0546090D
	v_fma_f32 v82, v14, v4, v82                                // 00000000E444: D1CB0052 054A090E
	v_fma_f32 v83, v15, v4, v83                                // 00000000E44C: D1CB0053 054E090F
	v_mfma_f32_16x16x32_fp8_fp8 v[12:15], a[120:121], a[40:41], 0// 00000000E454: D3F3000C 1A025178
	buffer_load_dwordx4 a[92:95], v57, s[24:27], 0 offen offset:1024// 00000000E45C: E05C1400 80865C39
	buffer_load_dword v46, s[20:23], 0 offen lds               // 00000000E464: E0511000 8005002E
	s_add_u32 m0, 0x100, s49                                   // 00000000E46C: 807C31FF 00000100
	v_mfma_f32_16x16x32_fp8_fp8 v[12:15], a[122:123], a[42:43], v[12:15]// 00000000E474: D3F3000C 1C32557A
	v_mfma_f32_16x16x32_fp8_fp8 v[12:15], a[124:125], a[44:45], v[12:15]// 00000000E47C: D3F3000C 1C32597C
	buffer_load_dword v47, s[20:23], 0 offen lds               // 00000000E484: E0511000 8005002F
	s_add_u32 m0, 0x200, s49                                   // 00000000E48C: 807C31FF 00000200
	v_mfma_f32_16x16x32_fp8_fp8 v[12:15], a[126:127], a[46:47], v[12:15]// 00000000E494: D3F3000C 1C325D7E
	v_fma_f32 v96, v8, v6, v96                                 // 00000000E49C: D1CB0060 05820D08
	v_fma_f32 v97, v9, v6, v97                                 // 00000000E4A4: D1CB0061 05860D09
	v_fma_f32 v98, v10, v6, v98                                // 00000000E4AC: D1CB0062 058A0D0A
	v_fma_f32 v99, v11, v6, v99                                // 00000000E4B4: D1CB0063 058E0D0B
	v_mul_f32_dpp v4, v26, v44 row_newbcast:0 row_mask:0xf bank_mask:0xf// 00000000E4BC: 0A0858FA FF01501A
	v_mfma_f32_16x16x32_fp8_fp8 v[8:11], a[96:97], a[48:49], 0 // 00000000E4C4: D3F30008 1A026160
	buffer_load_dword v48, s[20:23], 0 offen lds               // 00000000E4CC: E0511000 80050030
	s_add_u32 m0, 0x300, s49                                   // 00000000E4D4: 807C31FF 00000300
	v_mfma_f32_16x16x32_fp8_fp8 v[8:11], a[98:99], a[50:51], v[8:11]// 00000000E4DC: D3F30008 1C226562
	v_mfma_f32_16x16x32_fp8_fp8 v[8:11], a[100:101], a[52:53], v[8:11]// 00000000E4E4: D3F30008 1C226964
	buffer_load_dword v49, s[20:23], 0 offen lds               // 00000000E4EC: E0511000 80050031
	s_add_u32 m0, 0x400, s49                                   // 00000000E4F4: 807C31FF 00000400
	v_mfma_f32_16x16x32_fp8_fp8 v[8:11], a[102:103], a[54:55], v[8:11]// 00000000E4FC: D3F30008 1C226D66
	v_fma_f32 v112, v12, v6, v112                              // 00000000E504: D1CB0070 05C20D0C
	v_fma_f32 v113, v13, v6, v113                              // 00000000E50C: D1CB0071 05C60D0D
	v_fma_f32 v114, v14, v6, v114                              // 00000000E514: D1CB0072 05CA0D0E
	v_fma_f32 v115, v15, v6, v115                              // 00000000E51C: D1CB0073 05CE0D0F
	v_mfma_f32_16x16x32_fp8_fp8 v[12:15], a[104:105], a[48:49], 0// 00000000E524: D3F3000C 1A026168
	buffer_load_dword v50, s[20:23], 0 offen lds               // 00000000E52C: E0511000 80050032
	s_add_u32 m0, 0x500, s49                                   // 00000000E534: 807C31FF 00000500
	v_mfma_f32_16x16x32_fp8_fp8 v[12:15], a[106:107], a[50:51], v[12:15]// 00000000E53C: D3F3000C 1C32656A
	v_mfma_f32_16x16x32_fp8_fp8 v[12:15], a[108:109], a[52:53], v[12:15]// 00000000E544: D3F3000C 1C32696C
	buffer_load_dword v51, s[20:23], 0 offen lds               // 00000000E54C: E0511000 80050033
	s_add_u32 m0, 0x600, s49                                   // 00000000E554: 807C31FF 00000600
	v_mfma_f32_16x16x32_fp8_fp8 v[12:15], a[110:111], a[54:55], v[12:15]// 00000000E55C: D3F3000C 1C326D6E
	v_fma_f32 v68, v8, v4, v68                                 // 00000000E564: D1CB0044 05120908
	v_fma_f32 v69, v9, v4, v69                                 // 00000000E56C: D1CB0045 05160909
	v_fma_f32 v70, v10, v4, v70                                // 00000000E574: D1CB0046 051A090A
	v_fma_f32 v71, v11, v4, v71                                // 00000000E57C: D1CB0047 051E090B
	v_mul_f32_dpp v6, v26, v44 row_newbcast:1 row_mask:0xf bank_mask:0xf// 00000000E584: 0A0C58FA FF01511A
	v_mfma_f32_16x16x32_fp8_fp8 v[8:11], a[112:113], a[48:49], 0// 00000000E58C: D3F30008 1A026170
	buffer_load_dword v52, s[20:23], 0 offen lds               // 00000000E594: E0511000 80050034
	s_add_u32 m0, 0x700, s49                                   // 00000000E59C: 807C31FF 00000700
	v_mfma_f32_16x16x32_fp8_fp8 v[8:11], a[114:115], a[50:51], v[8:11]// 00000000E5A4: D3F30008 1C226572
	v_mfma_f32_16x16x32_fp8_fp8 v[8:11], a[116:117], a[52:53], v[8:11]// 00000000E5AC: D3F30008 1C226974
	buffer_load_dword v53, s[20:23], 0 offen lds               // 00000000E5B4: E0511000 80050035
	s_add_u32 m0, 0, s50                                       // 00000000E5BC: 807C3280
	v_mfma_f32_16x16x32_fp8_fp8 v[8:11], a[118:119], a[54:55], v[8:11]// 00000000E5C0: D3F30008 1C226D76
	v_fma_f32 v84, v12, v4, v84                                // 00000000E5C8: D1CB0054 0552090C
	v_fma_f32 v85, v13, v4, v85                                // 00000000E5D0: D1CB0055 0556090D
	v_fma_f32 v86, v14, v4, v86                                // 00000000E5D8: D1CB0056 055A090E
	v_fma_f32 v87, v15, v4, v87                                // 00000000E5E0: D1CB0057 055E090F
	v_mfma_f32_16x16x32_fp8_fp8 v[12:15], a[120:121], a[48:49], 0// 00000000E5E8: D3F3000C 1A026178
	buffer_load_dword v38, v30, s[28:31], 0 offen              // 00000000E5F0: E0501000 8007261E
	v_mfma_f32_16x16x32_fp8_fp8 v[12:15], a[122:123], a[50:51], v[12:15]// 00000000E5F8: D3F3000C 1C32657A
	v_mfma_f32_16x16x32_fp8_fp8 v[12:15], a[124:125], a[52:53], v[12:15]// 00000000E600: D3F3000C 1C32697C
	buffer_load_dword v39, v31, s[28:31], 0 offen              // 00000000E608: E0501000 8007271F
	v_mfma_f32_16x16x32_fp8_fp8 v[12:15], a[126:127], a[54:55], v[12:15]// 00000000E610: D3F3000C 1C326D7E
	v_fma_f32 v100, v8, v6, v100                               // 00000000E618: D1CB0064 05920D08
	v_fma_f32 v101, v9, v6, v101                               // 00000000E620: D1CB0065 05960D09
	v_fma_f32 v102, v10, v6, v102                              // 00000000E628: D1CB0066 059A0D0A
	v_fma_f32 v103, v11, v6, v103                              // 00000000E630: D1CB0067 059E0D0B
	v_mul_f32_dpp v4, v26, v45 row_newbcast:0 row_mask:0xf bank_mask:0xf// 00000000E638: 0A085AFA FF01501A
	v_mfma_f32_16x16x32_fp8_fp8 v[8:11], a[96:97], a[56:57], 0 // 00000000E640: D3F30008 1A027160
	buffer_load_dword v40, v32, s[28:31], 0 offen              // 00000000E648: E0501000 80072820
	v_mfma_f32_16x16x32_fp8_fp8 v[8:11], a[98:99], a[58:59], v[8:11]// 00000000E650: D3F30008 1C227562
	v_mfma_f32_16x16x32_fp8_fp8 v[8:11], a[100:101], a[60:61], v[8:11]// 00000000E658: D3F30008 1C227964
	buffer_load_dword v41, v33, s[28:31], 0 offen              // 00000000E660: E0501000 80072921
	v_mfma_f32_16x16x32_fp8_fp8 v[8:11], a[102:103], a[62:63], v[8:11]// 00000000E668: D3F30008 1C227D66
	v_fma_f32 v116, v12, v6, v116                              // 00000000E670: D1CB0074 05D20D0C
	v_fma_f32 v117, v13, v6, v117                              // 00000000E678: D1CB0075 05D60D0D
	v_fma_f32 v118, v14, v6, v118                              // 00000000E680: D1CB0076 05DA0D0E
	v_fma_f32 v119, v15, v6, v119                              // 00000000E688: D1CB0077 05DE0D0F
	v_mfma_f32_16x16x32_fp8_fp8 v[12:15], a[104:105], a[56:57], 0// 00000000E690: D3F3000C 1A027168
	v_mfma_f32_16x16x32_fp8_fp8 v[12:15], a[106:107], a[58:59], v[12:15]// 00000000E698: D3F3000C 1C32756A
	v_mfma_f32_16x16x32_fp8_fp8 v[12:15], a[108:109], a[60:61], v[12:15]// 00000000E6A0: D3F3000C 1C32796C
	v_mfma_f32_16x16x32_fp8_fp8 v[12:15], a[110:111], a[62:63], v[12:15]// 00000000E6A8: D3F3000C 1C327D6E
	v_fma_f32 v72, v8, v4, v72                                 // 00000000E6B0: D1CB0048 05220908
	v_fma_f32 v73, v9, v4, v73                                 // 00000000E6B8: D1CB0049 05260909
	v_fma_f32 v74, v10, v4, v74                                // 00000000E6C0: D1CB004A 052A090A
	v_fma_f32 v75, v11, v4, v75                                // 00000000E6C8: D1CB004B 052E090B
	v_mul_f32_dpp v6, v26, v45 row_newbcast:1 row_mask:0xf bank_mask:0xf// 00000000E6D0: 0A0C5AFA FF01511A
	v_mfma_f32_16x16x32_fp8_fp8 v[8:11], a[112:113], a[56:57], 0// 00000000E6D8: D3F30008 1A027170
	v_mfma_f32_16x16x32_fp8_fp8 v[8:11], a[114:115], a[58:59], v[8:11]// 00000000E6E0: D3F30008 1C227572
	v_mfma_f32_16x16x32_fp8_fp8 v[8:11], a[116:117], a[60:61], v[8:11]// 00000000E6E8: D3F30008 1C227974
	v_mfma_f32_16x16x32_fp8_fp8 v[8:11], a[118:119], a[62:63], v[8:11]// 00000000E6F0: D3F30008 1C227D76
	v_fma_f32 v88, v12, v4, v88                                // 00000000E6F8: D1CB0058 0562090C
	v_fma_f32 v89, v13, v4, v89                                // 00000000E700: D1CB0059 0566090D
	v_fma_f32 v90, v14, v4, v90                                // 00000000E708: D1CB005A 056A090E
	v_fma_f32 v91, v15, v4, v91                                // 00000000E710: D1CB005B 056E090F
	v_mfma_f32_16x16x32_fp8_fp8 v[12:15], a[120:121], a[56:57], 0// 00000000E718: D3F3000C 1A027178
	v_mfma_f32_16x16x32_fp8_fp8 v[12:15], a[122:123], a[58:59], v[12:15]// 00000000E720: D3F3000C 1C32757A
	v_mfma_f32_16x16x32_fp8_fp8 v[12:15], a[124:125], a[60:61], v[12:15]// 00000000E728: D3F3000C 1C32797C
	v_mfma_f32_16x16x32_fp8_fp8 v[12:15], a[126:127], a[62:63], v[12:15]// 00000000E730: D3F3000C 1C327D7E
	v_fma_f32 v104, v8, v6, v104                               // 00000000E738: D1CB0068 05A20D08
	v_fma_f32 v105, v9, v6, v105                               // 00000000E740: D1CB0069 05A60D09
	v_fma_f32 v106, v10, v6, v106                              // 00000000E748: D1CB006A 05AA0D0A
	v_fma_f32 v107, v11, v6, v107                              // 00000000E750: D1CB006B 05AE0D0B
	v_fma_f32 v120, v12, v6, v120                              // 00000000E758: D1CB0078 05E20D0C
	v_fma_f32 v121, v13, v6, v121                              // 00000000E760: D1CB0079 05E60D0D
	v_fma_f32 v122, v14, v6, v122                              // 00000000E768: D1CB007A 05EA0D0E
	v_fma_f32 v123, v15, v6, v123                              // 00000000E770: D1CB007B 05EE0D0F
	s_waitcnt vmcnt(21)                                        // 00000000E778: BF8C4F75
	s_barrier                                                  // 00000000E77C: BF8A0000
	v_mul_f32_dpp v4, v29, v42 row_newbcast:0 row_mask:0xf bank_mask:0xf// 00000000E780: 0A0854FA FF01501D
	v_mfma_f32_16x16x32_fp8_fp8 v[8:11], a[128:129], a[32:33], 0// 00000000E788: D3F30008 1A024180
	buffer_load_dword v27, v23, s[32:35], 0 offen              // 00000000E790: E0501000 80081B17
	buffer_load_dwordx4 a[96:99], v54, s[84:87], 0 offen       // 00000000E798: E05C1000 80956036
	v_mfma_f32_16x16x32_fp8_fp8 v[8:11], a[130:131], a[34:35], v[8:11]// 00000000E7A0: D3F30008 1C224582
	v_mfma_f32_16x16x32_fp8_fp8 v[8:11], a[132:133], a[36:37], v[8:11]// 00000000E7A8: D3F30008 1C224984
	ds_read_b128 a[0:3], v2                                    // 00000000E7B0: DBFE0000 00000002
	ds_read_b128 a[4:7], v2 offset:64                          // 00000000E7B8: DBFE0040 04000002
	v_mfma_f32_16x16x32_fp8_fp8 v[8:11], a[134:135], a[38:39], v[8:11]// 00000000E7C0: D3F30008 1C224D86
	v_mfma_f32_16x16x32_fp8_fp8 v[12:15], a[136:137], a[32:33], 0// 00000000E7C8: D3F3000C 1A024188
	buffer_load_dwordx4 a[100:103], v54, s[84:87], 0 offen offset:1024// 00000000E7D0: E05C1400 80956436
	v_mfma_f32_16x16x32_fp8_fp8 v[12:15], a[138:139], a[34:35], v[12:15]// 00000000E7D8: D3F3000C 1C32458A
	v_mfma_f32_16x16x32_fp8_fp8 v[12:15], a[140:141], a[36:37], v[12:15]// 00000000E7E0: D3F3000C 1C32498C
	ds_read_b128 a[8:11], v2 offset:512                        // 00000000E7E8: DBFE0200 08000002
	ds_read_b128 a[12:15], v2 offset:576                       // 00000000E7F0: DBFE0240 0C000002
	v_mfma_f32_16x16x32_fp8_fp8 v[12:15], a[142:143], a[38:39], v[12:15]// 00000000E7F8: D3F3000C 1C324D8E
	v_fma_f32 v124, v8, v4, v124                               // 00000000E800: D1CB007C 05F20908
	v_fma_f32 v125, v9, v4, v125                               // 00000000E808: D1CB007D 05F60909
	v_fma_f32 v126, v10, v4, v126                              // 00000000E810: D1CB007E 05FA090A
	v_fma_f32 v127, v11, v4, v127                              // 00000000E818: D1CB007F 05FE090B
	v_mul_f32_dpp v6, v29, v42 row_newbcast:1 row_mask:0xf bank_mask:0xf// 00000000E820: 0A0C54FA FF01511D
	v_mfma_f32_16x16x32_fp8_fp8 v[8:11], a[144:145], a[32:33], 0// 00000000E828: D3F30008 1A024190
	buffer_load_dwordx4 a[104:107], v55, s[84:87], 0 offen     // 00000000E830: E05C1000 80956837
	v_mfma_f32_16x16x32_fp8_fp8 v[8:11], a[146:147], a[34:35], v[8:11]// 00000000E838: D3F30008 1C224592
	v_mfma_f32_16x16x32_fp8_fp8 v[8:11], a[148:149], a[36:37], v[8:11]// 00000000E840: D3F30008 1C224994
	ds_read_b128 a[16:19], v2 offset:1024                      // 00000000E848: DBFE0400 10000002
	ds_read_b128 a[20:23], v2 offset:1088                      // 00000000E850: DBFE0440 14000002
	v_mfma_f32_16x16x32_fp8_fp8 v[8:11], a[150:151], a[38:39], v[8:11]// 00000000E858: D3F30008 1C224D96
	v_fma_f32 v140, v12, v4, v140                              // 00000000E860: D1CB008C 0632090C
	v_fma_f32 v141, v13, v4, v141                              // 00000000E868: D1CB008D 0636090D
	v_fma_f32 v142, v14, v4, v142                              // 00000000E870: D1CB008E 063A090E
	v_fma_f32 v143, v15, v4, v143                              // 00000000E878: D1CB008F 063E090F
	v_mfma_f32_16x16x32_fp8_fp8 v[12:15], a[152:153], a[32:33], 0// 00000000E880: D3F3000C 1A024198
	buffer_load_dwordx4 a[108:111], v55, s[84:87], 0 offen offset:1024// 00000000E888: E05C1400 80956C37
	v_mfma_f32_16x16x32_fp8_fp8 v[12:15], a[154:155], a[34:35], v[12:15]// 00000000E890: D3F3000C 1C32459A
	v_mfma_f32_16x16x32_fp8_fp8 v[12:15], a[156:157], a[36:37], v[12:15]// 00000000E898: D3F3000C 1C32499C
	ds_read_b128 a[24:27], v2 offset:1536                      // 00000000E8A0: DBFE0600 18000002
	ds_read_b128 a[28:31], v2 offset:1600                      // 00000000E8A8: DBFE0640 1C000002
	v_mfma_f32_16x16x32_fp8_fp8 v[12:15], a[158:159], a[38:39], v[12:15]// 00000000E8B0: D3F3000C 1C324D9E
	v_fma_f32 v156, v8, v6, v156                               // 00000000E8B8: D1CB009C 06720D08
	v_fma_f32 v157, v9, v6, v157                               // 00000000E8C0: D1CB009D 06760D09
	v_fma_f32 v158, v10, v6, v158                              // 00000000E8C8: D1CB009E 067A0D0A
	v_fma_f32 v159, v11, v6, v159                              // 00000000E8D0: D1CB009F 067E0D0B
	v_mul_f32_dpp v4, v29, v43 row_newbcast:0 row_mask:0xf bank_mask:0xf// 00000000E8D8: 0A0856FA FF01501D
	v_mfma_f32_16x16x32_fp8_fp8 v[8:11], a[128:129], a[40:41], 0// 00000000E8E0: D3F30008 1A025180
	buffer_load_dwordx4 a[112:115], v56, s[84:87], 0 offen     // 00000000E8E8: E05C1000 80957038
	v_mfma_f32_16x16x32_fp8_fp8 v[8:11], a[130:131], a[42:43], v[8:11]// 00000000E8F0: D3F30008 1C225582
	v_mfma_f32_16x16x32_fp8_fp8 v[8:11], a[132:133], a[44:45], v[8:11]// 00000000E8F8: D3F30008 1C225984
	v_mfma_f32_16x16x32_fp8_fp8 v[8:11], a[134:135], a[46:47], v[8:11]// 00000000E900: D3F30008 1C225D86
	v_fma_f32 v172, v12, v6, v172                              // 00000000E908: D1CB00AC 06B20D0C
	v_fma_f32 v173, v13, v6, v173                              // 00000000E910: D1CB00AD 06B60D0D
	v_fma_f32 v174, v14, v6, v174                              // 00000000E918: D1CB00AE 06BA0D0E
	v_fma_f32 v175, v15, v6, v175                              // 00000000E920: D1CB00AF 06BE0D0F
	v_mfma_f32_16x16x32_fp8_fp8 v[12:15], a[136:137], a[40:41], 0// 00000000E928: D3F3000C 1A025188
	buffer_load_dwordx4 a[116:119], v56, s[84:87], 0 offen offset:1024// 00000000E930: E05C1400 80957438
	v_mfma_f32_16x16x32_fp8_fp8 v[12:15], a[138:139], a[42:43], v[12:15]// 00000000E938: D3F3000C 1C32558A
	v_mfma_f32_16x16x32_fp8_fp8 v[12:15], a[140:141], a[44:45], v[12:15]// 00000000E940: D3F3000C 1C32598C
	v_mfma_f32_16x16x32_fp8_fp8 v[12:15], a[142:143], a[46:47], v[12:15]// 00000000E948: D3F3000C 1C325D8E
	v_fma_f32 v128, v8, v4, v128                               // 00000000E950: D1CB0080 06020908
	v_fma_f32 v129, v9, v4, v129                               // 00000000E958: D1CB0081 06060909
	v_fma_f32 v130, v10, v4, v130                              // 00000000E960: D1CB0082 060A090A
	v_fma_f32 v131, v11, v4, v131                              // 00000000E968: D1CB0083 060E090B
	v_mul_f32_dpp v6, v29, v43 row_newbcast:1 row_mask:0xf bank_mask:0xf// 00000000E970: 0A0C56FA FF01511D
	v_mfma_f32_16x16x32_fp8_fp8 v[8:11], a[144:145], a[40:41], 0// 00000000E978: D3F30008 1A025190
	buffer_load_dwordx4 a[120:123], v57, s[84:87], 0 offen     // 00000000E980: E05C1000 80957839
	v_mfma_f32_16x16x32_fp8_fp8 v[8:11], a[146:147], a[42:43], v[8:11]// 00000000E988: D3F30008 1C225592
	v_mfma_f32_16x16x32_fp8_fp8 v[8:11], a[148:149], a[44:45], v[8:11]// 00000000E990: D3F30008 1C225994
	v_mfma_f32_16x16x32_fp8_fp8 v[8:11], a[150:151], a[46:47], v[8:11]// 00000000E998: D3F30008 1C225D96
	v_fma_f32 v144, v12, v4, v144                              // 00000000E9A0: D1CB0090 0642090C
	v_fma_f32 v145, v13, v4, v145                              // 00000000E9A8: D1CB0091 0646090D
	v_fma_f32 v146, v14, v4, v146                              // 00000000E9B0: D1CB0092 064A090E
	v_fma_f32 v147, v15, v4, v147                              // 00000000E9B8: D1CB0093 064E090F
	v_mfma_f32_16x16x32_fp8_fp8 v[12:15], a[152:153], a[40:41], 0// 00000000E9C0: D3F3000C 1A025198
	buffer_load_dwordx4 a[124:127], v57, s[84:87], 0 offen offset:1024// 00000000E9C8: E05C1400 80957C39
	v_mfma_f32_16x16x32_fp8_fp8 v[12:15], a[154:155], a[42:43], v[12:15]// 00000000E9D0: D3F3000C 1C32559A
	v_mfma_f32_16x16x32_fp8_fp8 v[12:15], a[156:157], a[44:45], v[12:15]// 00000000E9D8: D3F3000C 1C32599C
	v_mfma_f32_16x16x32_fp8_fp8 v[12:15], a[158:159], a[46:47], v[12:15]// 00000000E9E0: D3F3000C 1C325D9E
	v_fma_f32 v160, v8, v6, v160                               // 00000000E9E8: D1CB00A0 06820D08
	v_fma_f32 v161, v9, v6, v161                               // 00000000E9F0: D1CB00A1 06860D09
	v_fma_f32 v162, v10, v6, v162                              // 00000000E9F8: D1CB00A2 068A0D0A
	v_fma_f32 v163, v11, v6, v163                              // 00000000EA00: D1CB00A3 068E0D0B
	v_mul_f32_dpp v4, v29, v44 row_newbcast:0 row_mask:0xf bank_mask:0xf// 00000000EA08: 0A0858FA FF01501D
	v_mfma_f32_16x16x32_fp8_fp8 v[8:11], a[128:129], a[48:49], 0// 00000000EA10: D3F30008 1A026180
	v_mfma_f32_16x16x32_fp8_fp8 v[8:11], a[130:131], a[50:51], v[8:11]// 00000000EA18: D3F30008 1C226582
	v_mfma_f32_16x16x32_fp8_fp8 v[8:11], a[132:133], a[52:53], v[8:11]// 00000000EA20: D3F30008 1C226984
	v_mfma_f32_16x16x32_fp8_fp8 v[8:11], a[134:135], a[54:55], v[8:11]// 00000000EA28: D3F30008 1C226D86
	v_fma_f32 v176, v12, v6, v176                              // 00000000EA30: D1CB00B0 06C20D0C
	v_fma_f32 v177, v13, v6, v177                              // 00000000EA38: D1CB00B1 06C60D0D
	v_fma_f32 v178, v14, v6, v178                              // 00000000EA40: D1CB00B2 06CA0D0E
	v_fma_f32 v179, v15, v6, v179                              // 00000000EA48: D1CB00B3 06CE0D0F
	v_mfma_f32_16x16x32_fp8_fp8 v[12:15], a[136:137], a[48:49], 0// 00000000EA50: D3F3000C 1A026188
	v_mfma_f32_16x16x32_fp8_fp8 v[12:15], a[138:139], a[50:51], v[12:15]// 00000000EA58: D3F3000C 1C32658A
	v_mfma_f32_16x16x32_fp8_fp8 v[12:15], a[140:141], a[52:53], v[12:15]// 00000000EA60: D3F3000C 1C32698C
	v_mfma_f32_16x16x32_fp8_fp8 v[12:15], a[142:143], a[54:55], v[12:15]// 00000000EA68: D3F3000C 1C326D8E
	v_fma_f32 v132, v8, v4, v132                               // 00000000EA70: D1CB0084 06120908
	v_fma_f32 v133, v9, v4, v133                               // 00000000EA78: D1CB0085 06160909
	v_fma_f32 v134, v10, v4, v134                              // 00000000EA80: D1CB0086 061A090A
	v_fma_f32 v135, v11, v4, v135                              // 00000000EA88: D1CB0087 061E090B
	v_mul_f32_dpp v6, v29, v44 row_newbcast:1 row_mask:0xf bank_mask:0xf// 00000000EA90: 0A0C58FA FF01511D
	v_mfma_f32_16x16x32_fp8_fp8 v[8:11], a[144:145], a[48:49], 0// 00000000EA98: D3F30008 1A026190
	v_mfma_f32_16x16x32_fp8_fp8 v[8:11], a[146:147], a[50:51], v[8:11]// 00000000EAA0: D3F30008 1C226592
	v_mfma_f32_16x16x32_fp8_fp8 v[8:11], a[148:149], a[52:53], v[8:11]// 00000000EAA8: D3F30008 1C226994
	v_mfma_f32_16x16x32_fp8_fp8 v[8:11], a[150:151], a[54:55], v[8:11]// 00000000EAB0: D3F30008 1C226D96
	v_fma_f32 v148, v12, v4, v148                              // 00000000EAB8: D1CB0094 0652090C
	v_fma_f32 v149, v13, v4, v149                              // 00000000EAC0: D1CB0095 0656090D
	v_fma_f32 v150, v14, v4, v150                              // 00000000EAC8: D1CB0096 065A090E
	v_fma_f32 v151, v15, v4, v151                              // 00000000EAD0: D1CB0097 065E090F
	v_mfma_f32_16x16x32_fp8_fp8 v[12:15], a[152:153], a[48:49], 0// 00000000EAD8: D3F3000C 1A026198
	v_mfma_f32_16x16x32_fp8_fp8 v[12:15], a[154:155], a[50:51], v[12:15]// 00000000EAE0: D3F3000C 1C32659A
	v_mfma_f32_16x16x32_fp8_fp8 v[12:15], a[156:157], a[52:53], v[12:15]// 00000000EAE8: D3F3000C 1C32699C
	v_mfma_f32_16x16x32_fp8_fp8 v[12:15], a[158:159], a[54:55], v[12:15]// 00000000EAF0: D3F3000C 1C326D9E
	v_fma_f32 v164, v8, v6, v164                               // 00000000EAF8: D1CB00A4 06920D08
	v_fma_f32 v165, v9, v6, v165                               // 00000000EB00: D1CB00A5 06960D09
	v_fma_f32 v166, v10, v6, v166                              // 00000000EB08: D1CB00A6 069A0D0A
	v_fma_f32 v167, v11, v6, v167                              // 00000000EB10: D1CB00A7 069E0D0B
	v_mul_f32_dpp v4, v29, v45 row_newbcast:0 row_mask:0xf bank_mask:0xf// 00000000EB18: 0A085AFA FF01501D
	v_mfma_f32_16x16x32_fp8_fp8 v[8:11], a[128:129], a[56:57], 0// 00000000EB20: D3F30008 1A027180
	v_mfma_f32_16x16x32_fp8_fp8 v[8:11], a[130:131], a[58:59], v[8:11]// 00000000EB28: D3F30008 1C227582
	v_mfma_f32_16x16x32_fp8_fp8 v[8:11], a[132:133], a[60:61], v[8:11]// 00000000EB30: D3F30008 1C227984
	v_mfma_f32_16x16x32_fp8_fp8 v[8:11], a[134:135], a[62:63], v[8:11]// 00000000EB38: D3F30008 1C227D86
	v_fma_f32 v180, v12, v6, v180                              // 00000000EB40: D1CB00B4 06D20D0C
	v_fma_f32 v181, v13, v6, v181                              // 00000000EB48: D1CB00B5 06D60D0D
	v_fma_f32 v182, v14, v6, v182                              // 00000000EB50: D1CB00B6 06DA0D0E
	v_fma_f32 v183, v15, v6, v183                              // 00000000EB58: D1CB00B7 06DE0D0F
	v_mfma_f32_16x16x32_fp8_fp8 v[12:15], a[136:137], a[56:57], 0// 00000000EB60: D3F3000C 1A027188
	v_mfma_f32_16x16x32_fp8_fp8 v[12:15], a[138:139], a[58:59], v[12:15]// 00000000EB68: D3F3000C 1C32758A
	v_mfma_f32_16x16x32_fp8_fp8 v[12:15], a[140:141], a[60:61], v[12:15]// 00000000EB70: D3F3000C 1C32798C
	v_mfma_f32_16x16x32_fp8_fp8 v[12:15], a[142:143], a[62:63], v[12:15]// 00000000EB78: D3F3000C 1C327D8E
	v_fma_f32 v136, v8, v4, v136                               // 00000000EB80: D1CB0088 06220908
	v_fma_f32 v137, v9, v4, v137                               // 00000000EB88: D1CB0089 06260909
	v_fma_f32 v138, v10, v4, v138                              // 00000000EB90: D1CB008A 062A090A
	v_fma_f32 v139, v11, v4, v139                              // 00000000EB98: D1CB008B 062E090B
	v_mul_f32_dpp v6, v29, v45 row_newbcast:1 row_mask:0xf bank_mask:0xf// 00000000EBA0: 0A0C5AFA FF01511D
	v_mfma_f32_16x16x32_fp8_fp8 v[8:11], a[144:145], a[56:57], 0// 00000000EBA8: D3F30008 1A027190
	s_add_u32 s60, 0x180, s80                                  // 00000000EBB0: 803C50FF 00000180
	s_cmp_lt_u32 s60, s81                                      // 00000000EBB8: BF0A513C
	s_cselect_b32 s57, s57, 0                                  // 00000000EBBC: 85398039
	s_cselect_b32 s3, s3, 0                                    // 00000000EBC0: 85038003
	v_mfma_f32_16x16x32_fp8_fp8 v[8:11], a[146:147], a[58:59], v[8:11]// 00000000EBC4: D3F30008 1C227592
	s_add_u32 s60, 0x100, s80                                  // 00000000EBCC: 803C50FF 00000100
	s_cmp_lt_u32 s60, s81                                      // 00000000EBD4: BF0A513C
	s_cselect_b32 s58, s58, 0                                  // 00000000EBD8: 853A803A
	v_mfma_f32_16x16x32_fp8_fp8 v[8:11], a[148:149], a[60:61], v[8:11]// 00000000EBDC: D3F30008 1C227994
	s_add_u32 s60, 0x100, s80                                  // 00000000EBE4: 803C50FF 00000100
	s_cmp_lt_u32 s60, s81                                      // 00000000EBEC: BF0A513C
	s_cselect_b32 s83, s83, 0                                  // 00000000EBF0: 85538053
	s_cselect_b32 s4, s4, 0                                    // 00000000EBF4: 85048004
	v_mfma_f32_16x16x32_fp8_fp8 v[8:11], a[150:151], a[62:63], v[8:11]// 00000000EBF8: D3F30008 1C227D96
	s_add_u32 s24, s58, s24                                    // 00000000EC00: 8018183A
	s_addc_u32 s25, 0, s25                                     // 00000000EC04: 82191980
	v_fma_f32 v152, v12, v4, v152                              // 00000000EC08: D1CB0098 0662090C
	v_fma_f32 v153, v13, v4, v153                              // 00000000EC10: D1CB0099 0666090D
	v_fma_f32 v154, v14, v4, v154                              // 00000000EC18: D1CB009A 066A090E
	v_fma_f32 v155, v15, v4, v155                              // 00000000EC20: D1CB009B 066E090F
	v_mfma_f32_16x16x32_fp8_fp8 v[12:15], a[152:153], a[56:57], 0// 00000000EC28: D3F3000C 1A027198
	s_add_u32 s20, s57, s20                                    // 00000000EC30: 80141439
	s_addc_u32 s21, 0, s21                                     // 00000000EC34: 82151580
	s_add_u32 s28, s3, s28                                     // 00000000EC38: 801C1C03
	s_addc_u32 s29, 0, s29                                     // 00000000EC3C: 821D1D80
	v_mfma_f32_16x16x32_fp8_fp8 v[12:15], a[154:155], a[58:59], v[12:15]// 00000000EC40: D3F3000C 1C32759A
	s_add_u32 s84, s83, s84                                    // 00000000EC48: 80545453
	s_addc_u32 s85, 0, s85                                     // 00000000EC4C: 82555580
	v_mfma_f32_16x16x32_fp8_fp8 v[12:15], a[156:157], a[60:61], v[12:15]// 00000000EC50: D3F3000C 1C32799C
	s_add_u32 s32, s4, s32                                     // 00000000EC58: 80202004
	s_addc_u32 s33, 0, s33                                     // 00000000EC5C: 82212180
	v_mfma_f32_16x16x32_fp8_fp8 v[12:15], a[158:159], a[62:63], v[12:15]// 00000000EC60: D3F3000C 1C327D9E
	v_fma_f32 v168, v8, v6, v168                               // 00000000EC68: D1CB00A8 06A20D08
	v_fma_f32 v169, v9, v6, v169                               // 00000000EC70: D1CB00A9 06A60D09
	v_fma_f32 v170, v10, v6, v170                              // 00000000EC78: D1CB00AA 06AA0D0A
	v_fma_f32 v171, v11, v6, v171                              // 00000000EC80: D1CB00AB 06AE0D0B
	v_fma_f32 v184, v12, v6, v184                              // 00000000EC88: D1CB00B8 06E20D0C
	v_fma_f32 v185, v13, v6, v185                              // 00000000EC90: D1CB00B9 06E60D0D
	v_fma_f32 v186, v14, v6, v186                              // 00000000EC98: D1CB00BA 06EA0D0E
	v_fma_f32 v187, v15, v6, v187                              // 00000000ECA0: D1CB00BB 06EE0D0F
	s_addk_i32 s80, 0x80                                       // 00000000ECA8: B7500080
	s_cmp_lt_i32 s80, s81                                      // 00000000ECAC: BF045150
	s_cbranch_scc0 label_30B1                                  // 00000000ECB0: BF840001
	s_branch label_211A                                        // 00000000ECB4: BF82F069

000000000000ecb8 <label_30B1>:
	s_cmp_eq_u32 s88, 0                                        // 00000000ECB8: BF068058
	s_cbranch_scc0 label_3A06                                  // 00000000ECBC: BF840953
	s_cmp_eq_u32 s89, 0                                        // 00000000ECC0: BF068059
	s_cbranch_scc1 label_333A                                  // 00000000ECC4: BF850285
	v_mov_b32_e32 v8, v1                                       // 00000000ECC8: 7E100301
	v_mov_b32_e32 v9, v1                                       // 00000000ECCC: 7E120301
	s_mov_b32 s60, s6                                          // 00000000ECD0: BEBC0006
	s_mov_b32 s61, s6                                          // 00000000ECD4: BEBD0006
	v_pk_mul_f32 v[4:5], v[60:61], v[60:61]                    // 00000000ECD8: D3B14004 1802793C
	v_pk_mul_f32 v[6:7], v[62:63], v[62:63]                    // 00000000ECE0: D3B14006 18027D3E
	v_pk_fma_f32 v[4:5], v[4:5], s[78:79], v[8:9]              // 00000000ECE8: D3B04004 1C209D04
	v_pk_fma_f32 v[6:7], v[6:7], s[78:79], v[8:9]              // 00000000ECF0: D3B04006 1C209D06
	v_pk_mul_f32 v[4:5], v[4:5], v[60:61]                      // 00000000ECF8: D3B14004 18027904
	v_pk_mul_f32 v[6:7], v[6:7], v[62:63]                      // 00000000ED00: D3B14006 18027D06
	v_pk_mul_f32 v[4:5], v[4:5], s[60:61]                      // 00000000ED08: D3B14004 18007904
	v_pk_mul_f32 v[6:7], v[6:7], s[60:61]                      // 00000000ED10: D3B14006 18007906
	v_exp_f32_e32 v4, v4                                       // 00000000ED18: 7E084104
	v_exp_f32_e32 v5, v5                                       // 00000000ED1C: 7E0A4105
	v_exp_f32_e32 v6, v6                                       // 00000000ED20: 7E0C4106
	v_exp_f32_e32 v7, v7                                       // 00000000ED24: 7E0E4107
	v_add_f32_e64 v4, v4, 1.0                                  // 00000000ED28: D1010004 0001E504
	v_add_f32_e64 v5, v5, 1.0                                  // 00000000ED30: D1010005 0001E505
	v_add_f32_e64 v6, v6, 1.0                                  // 00000000ED38: D1010006 0001E506
	v_add_f32_e64 v7, v7, 1.0                                  // 00000000ED40: D1010007 0001E507
	v_rcp_f32_e32 v4, v4                                       // 00000000ED48: 7E084504
	v_rcp_f32_e32 v5, v5                                       // 00000000ED4C: 7E0A4505
	v_rcp_f32_e32 v6, v6                                       // 00000000ED50: 7E0C4506
	v_rcp_f32_e32 v7, v7                                       // 00000000ED54: 7E0E4507
	v_mul_f32_e32 v60, v60, v4                                 // 00000000ED58: 0A78093C
	v_mul_f32_e32 v61, v61, v5                                 // 00000000ED5C: 0A7A0B3D
	v_mul_f32_e32 v62, v62, v6                                 // 00000000ED60: 0A7C0D3E
	v_mul_f32_e32 v63, v63, v7                                 // 00000000ED64: 0A7E0F3F
	v_mul_f32_e32 v60, v60, v124                               // 00000000ED68: 0A78F93C
	v_mul_f32_e32 v61, v61, v125                               // 00000000ED6C: 0A7AFB3D
	v_mul_f32_e32 v62, v62, v126                               // 00000000ED70: 0A7CFD3E
	v_mul_f32_e32 v63, v63, v127                               // 00000000ED74: 0A7EFF3F
	v_pk_mul_f32 v[4:5], v[64:65], v[64:65]                    // 00000000ED78: D3B14004 18028140
	v_pk_mul_f32 v[6:7], v[66:67], v[66:67]                    // 00000000ED80: D3B14006 18028542
	v_pk_fma_f32 v[4:5], v[4:5], s[78:79], v[8:9]              // 00000000ED88: D3B04004 1C209D04
	v_pk_fma_f32 v[6:7], v[6:7], s[78:79], v[8:9]              // 00000000ED90: D3B04006 1C209D06
	v_pk_mul_f32 v[4:5], v[4:5], v[64:65]                      // 00000000ED98: D3B14004 18028104
	v_pk_mul_f32 v[6:7], v[6:7], v[66:67]                      // 00000000EDA0: D3B14006 18028506
	v_pk_mul_f32 v[4:5], v[4:5], s[60:61]                      // 00000000EDA8: D3B14004 18007904
	v_pk_mul_f32 v[6:7], v[6:7], s[60:61]                      // 00000000EDB0: D3B14006 18007906
	v_exp_f32_e32 v4, v4                                       // 00000000EDB8: 7E084104
	v_exp_f32_e32 v5, v5                                       // 00000000EDBC: 7E0A4105
	v_exp_f32_e32 v6, v6                                       // 00000000EDC0: 7E0C4106
	v_exp_f32_e32 v7, v7                                       // 00000000EDC4: 7E0E4107
	v_add_f32_e64 v4, v4, 1.0                                  // 00000000EDC8: D1010004 0001E504
	v_add_f32_e64 v5, v5, 1.0                                  // 00000000EDD0: D1010005 0001E505
	v_add_f32_e64 v6, v6, 1.0                                  // 00000000EDD8: D1010006 0001E506
	v_add_f32_e64 v7, v7, 1.0                                  // 00000000EDE0: D1010007 0001E507
	v_rcp_f32_e32 v4, v4                                       // 00000000EDE8: 7E084504
	v_rcp_f32_e32 v5, v5                                       // 00000000EDEC: 7E0A4505
	v_rcp_f32_e32 v6, v6                                       // 00000000EDF0: 7E0C4506
	v_rcp_f32_e32 v7, v7                                       // 00000000EDF4: 7E0E4507
	v_mul_f32_e32 v64, v64, v4                                 // 00000000EDF8: 0A800940
	v_mul_f32_e32 v65, v65, v5                                 // 00000000EDFC: 0A820B41
	v_mul_f32_e32 v66, v66, v6                                 // 00000000EE00: 0A840D42
	v_mul_f32_e32 v67, v67, v7                                 // 00000000EE04: 0A860F43
	v_mul_f32_e32 v64, v64, v128                               // 00000000EE08: 0A810140
	v_mul_f32_e32 v65, v65, v129                               // 00000000EE0C: 0A830341
	v_mul_f32_e32 v66, v66, v130                               // 00000000EE10: 0A850542
	v_mul_f32_e32 v67, v67, v131                               // 00000000EE14: 0A870743
	v_pk_mul_f32 v[4:5], v[68:69], v[68:69]                    // 00000000EE18: D3B14004 18028944
	v_pk_mul_f32 v[6:7], v[70:71], v[70:71]                    // 00000000EE20: D3B14006 18028D46
	v_pk_fma_f32 v[4:5], v[4:5], s[78:79], v[8:9]              // 00000000EE28: D3B04004 1C209D04
	v_pk_fma_f32 v[6:7], v[6:7], s[78:79], v[8:9]              // 00000000EE30: D3B04006 1C209D06
	v_pk_mul_f32 v[4:5], v[4:5], v[68:69]                      // 00000000EE38: D3B14004 18028904
	v_pk_mul_f32 v[6:7], v[6:7], v[70:71]                      // 00000000EE40: D3B14006 18028D06
	v_pk_mul_f32 v[4:5], v[4:5], s[60:61]                      // 00000000EE48: D3B14004 18007904
	v_pk_mul_f32 v[6:7], v[6:7], s[60:61]                      // 00000000EE50: D3B14006 18007906
	v_exp_f32_e32 v4, v4                                       // 00000000EE58: 7E084104
	v_exp_f32_e32 v5, v5                                       // 00000000EE5C: 7E0A4105
	v_exp_f32_e32 v6, v6                                       // 00000000EE60: 7E0C4106
	v_exp_f32_e32 v7, v7                                       // 00000000EE64: 7E0E4107
	v_add_f32_e64 v4, v4, 1.0                                  // 00000000EE68: D1010004 0001E504
	v_add_f32_e64 v5, v5, 1.0                                  // 00000000EE70: D1010005 0001E505
	v_add_f32_e64 v6, v6, 1.0                                  // 00000000EE78: D1010006 0001E506
	v_add_f32_e64 v7, v7, 1.0                                  // 00000000EE80: D1010007 0001E507
	v_rcp_f32_e32 v4, v4                                       // 00000000EE88: 7E084504
	v_rcp_f32_e32 v5, v5                                       // 00000000EE8C: 7E0A4505
	v_rcp_f32_e32 v6, v6                                       // 00000000EE90: 7E0C4506
	v_rcp_f32_e32 v7, v7                                       // 00000000EE94: 7E0E4507
	v_mul_f32_e32 v68, v68, v4                                 // 00000000EE98: 0A880944
	v_mul_f32_e32 v69, v69, v5                                 // 00000000EE9C: 0A8A0B45
	v_mul_f32_e32 v70, v70, v6                                 // 00000000EEA0: 0A8C0D46
	v_mul_f32_e32 v71, v71, v7                                 // 00000000EEA4: 0A8E0F47
	v_mul_f32_e32 v68, v68, v132                               // 00000000EEA8: 0A890944
	v_mul_f32_e32 v69, v69, v133                               // 00000000EEAC: 0A8B0B45
	v_mul_f32_e32 v70, v70, v134                               // 00000000EEB0: 0A8D0D46
	v_mul_f32_e32 v71, v71, v135                               // 00000000EEB4: 0A8F0F47
	v_pk_mul_f32 v[4:5], v[72:73], v[72:73]                    // 00000000EEB8: D3B14004 18029148
	v_pk_mul_f32 v[6:7], v[74:75], v[74:75]                    // 00000000EEC0: D3B14006 1802954A
	v_pk_fma_f32 v[4:5], v[4:5], s[78:79], v[8:9]              // 00000000EEC8: D3B04004 1C209D04
	v_pk_fma_f32 v[6:7], v[6:7], s[78:79], v[8:9]              // 00000000EED0: D3B04006 1C209D06
	v_pk_mul_f32 v[4:5], v[4:5], v[72:73]                      // 00000000EED8: D3B14004 18029104
	v_pk_mul_f32 v[6:7], v[6:7], v[74:75]                      // 00000000EEE0: D3B14006 18029506
	v_pk_mul_f32 v[4:5], v[4:5], s[60:61]                      // 00000000EEE8: D3B14004 18007904
	v_pk_mul_f32 v[6:7], v[6:7], s[60:61]                      // 00000000EEF0: D3B14006 18007906
	v_exp_f32_e32 v4, v4                                       // 00000000EEF8: 7E084104
	v_exp_f32_e32 v5, v5                                       // 00000000EEFC: 7E0A4105
	v_exp_f32_e32 v6, v6                                       // 00000000EF00: 7E0C4106
	v_exp_f32_e32 v7, v7                                       // 00000000EF04: 7E0E4107
	v_add_f32_e64 v4, v4, 1.0                                  // 00000000EF08: D1010004 0001E504
	v_add_f32_e64 v5, v5, 1.0                                  // 00000000EF10: D1010005 0001E505
	v_add_f32_e64 v6, v6, 1.0                                  // 00000000EF18: D1010006 0001E506
	v_add_f32_e64 v7, v7, 1.0                                  // 00000000EF20: D1010007 0001E507
	v_rcp_f32_e32 v4, v4                                       // 00000000EF28: 7E084504
	v_rcp_f32_e32 v5, v5                                       // 00000000EF2C: 7E0A4505
	v_rcp_f32_e32 v6, v6                                       // 00000000EF30: 7E0C4506
	v_rcp_f32_e32 v7, v7                                       // 00000000EF34: 7E0E4507
	v_mul_f32_e32 v72, v72, v4                                 // 00000000EF38: 0A900948
	v_mul_f32_e32 v73, v73, v5                                 // 00000000EF3C: 0A920B49
	v_mul_f32_e32 v74, v74, v6                                 // 00000000EF40: 0A940D4A
	v_mul_f32_e32 v75, v75, v7                                 // 00000000EF44: 0A960F4B
	v_mul_f32_e32 v72, v72, v136                               // 00000000EF48: 0A911148
	v_mul_f32_e32 v73, v73, v137                               // 00000000EF4C: 0A931349
	v_mul_f32_e32 v74, v74, v138                               // 00000000EF50: 0A95154A
	v_mul_f32_e32 v75, v75, v139                               // 00000000EF54: 0A97174B
	v_pk_mul_f32 v[4:5], v[76:77], v[76:77]                    // 00000000EF58: D3B14004 1802994C
	v_pk_mul_f32 v[6:7], v[78:79], v[78:79]                    // 00000000EF60: D3B14006 18029D4E
	v_pk_fma_f32 v[4:5], v[4:5], s[78:79], v[8:9]              // 00000000EF68: D3B04004 1C209D04
	v_pk_fma_f32 v[6:7], v[6:7], s[78:79], v[8:9]              // 00000000EF70: D3B04006 1C209D06
	v_pk_mul_f32 v[4:5], v[4:5], v[76:77]                      // 00000000EF78: D3B14004 18029904
	v_pk_mul_f32 v[6:7], v[6:7], v[78:79]                      // 00000000EF80: D3B14006 18029D06
	v_pk_mul_f32 v[4:5], v[4:5], s[60:61]                      // 00000000EF88: D3B14004 18007904
	v_pk_mul_f32 v[6:7], v[6:7], s[60:61]                      // 00000000EF90: D3B14006 18007906
	v_exp_f32_e32 v4, v4                                       // 00000000EF98: 7E084104
	v_exp_f32_e32 v5, v5                                       // 00000000EF9C: 7E0A4105
	v_exp_f32_e32 v6, v6                                       // 00000000EFA0: 7E0C4106
	v_exp_f32_e32 v7, v7                                       // 00000000EFA4: 7E0E4107
	v_add_f32_e64 v4, v4, 1.0                                  // 00000000EFA8: D1010004 0001E504
	v_add_f32_e64 v5, v5, 1.0                                  // 00000000EFB0: D1010005 0001E505
	v_add_f32_e64 v6, v6, 1.0                                  // 00000000EFB8: D1010006 0001E506
	v_add_f32_e64 v7, v7, 1.0                                  // 00000000EFC0: D1010007 0001E507
	v_rcp_f32_e32 v4, v4                                       // 00000000EFC8: 7E084504
	v_rcp_f32_e32 v5, v5                                       // 00000000EFCC: 7E0A4505
	v_rcp_f32_e32 v6, v6                                       // 00000000EFD0: 7E0C4506
	v_rcp_f32_e32 v7, v7                                       // 00000000EFD4: 7E0E4507
	v_mul_f32_e32 v76, v76, v4                                 // 00000000EFD8: 0A98094C
	v_mul_f32_e32 v77, v77, v5                                 // 00000000EFDC: 0A9A0B4D
	v_mul_f32_e32 v78, v78, v6                                 // 00000000EFE0: 0A9C0D4E
	v_mul_f32_e32 v79, v79, v7                                 // 00000000EFE4: 0A9E0F4F
	v_mul_f32_e32 v76, v76, v140                               // 00000000EFE8: 0A99194C
	v_mul_f32_e32 v77, v77, v141                               // 00000000EFEC: 0A9B1B4D
	v_mul_f32_e32 v78, v78, v142                               // 00000000EFF0: 0A9D1D4E
	v_mul_f32_e32 v79, v79, v143                               // 00000000EFF4: 0A9F1F4F
	v_pk_mul_f32 v[4:5], v[80:81], v[80:81]                    // 00000000EFF8: D3B14004 1802A150
	v_pk_mul_f32 v[6:7], v[82:83], v[82:83]                    // 00000000F000: D3B14006 1802A552
	v_pk_fma_f32 v[4:5], v[4:5], s[78:79], v[8:9]              // 00000000F008: D3B04004 1C209D04
	v_pk_fma_f32 v[6:7], v[6:7], s[78:79], v[8:9]              // 00000000F010: D3B04006 1C209D06
	v_pk_mul_f32 v[4:5], v[4:5], v[80:81]                      // 00000000F018: D3B14004 1802A104
	v_pk_mul_f32 v[6:7], v[6:7], v[82:83]                      // 00000000F020: D3B14006 1802A506
	v_pk_mul_f32 v[4:5], v[4:5], s[60:61]                      // 00000000F028: D3B14004 18007904
	v_pk_mul_f32 v[6:7], v[6:7], s[60:61]                      // 00000000F030: D3B14006 18007906
	v_exp_f32_e32 v4, v4                                       // 00000000F038: 7E084104
	v_exp_f32_e32 v5, v5                                       // 00000000F03C: 7E0A4105
	v_exp_f32_e32 v6, v6                                       // 00000000F040: 7E0C4106
	v_exp_f32_e32 v7, v7                                       // 00000000F044: 7E0E4107
	v_add_f32_e64 v4, v4, 1.0                                  // 00000000F048: D1010004 0001E504
	v_add_f32_e64 v5, v5, 1.0                                  // 00000000F050: D1010005 0001E505
	v_add_f32_e64 v6, v6, 1.0                                  // 00000000F058: D1010006 0001E506
	v_add_f32_e64 v7, v7, 1.0                                  // 00000000F060: D1010007 0001E507
	v_rcp_f32_e32 v4, v4                                       // 00000000F068: 7E084504
	v_rcp_f32_e32 v5, v5                                       // 00000000F06C: 7E0A4505
	v_rcp_f32_e32 v6, v6                                       // 00000000F070: 7E0C4506
	v_rcp_f32_e32 v7, v7                                       // 00000000F074: 7E0E4507
	v_mul_f32_e32 v80, v80, v4                                 // 00000000F078: 0AA00950
	v_mul_f32_e32 v81, v81, v5                                 // 00000000F07C: 0AA20B51
	v_mul_f32_e32 v82, v82, v6                                 // 00000000F080: 0AA40D52
	v_mul_f32_e32 v83, v83, v7                                 // 00000000F084: 0AA60F53
	v_mul_f32_e32 v80, v80, v144                               // 00000000F088: 0AA12150
	v_mul_f32_e32 v81, v81, v145                               // 00000000F08C: 0AA32351
	v_mul_f32_e32 v82, v82, v146                               // 00000000F090: 0AA52552
	v_mul_f32_e32 v83, v83, v147                               // 00000000F094: 0AA72753
	v_pk_mul_f32 v[4:5], v[84:85], v[84:85]                    // 00000000F098: D3B14004 1802A954
	v_pk_mul_f32 v[6:7], v[86:87], v[86:87]                    // 00000000F0A0: D3B14006 1802AD56
	v_pk_fma_f32 v[4:5], v[4:5], s[78:79], v[8:9]              // 00000000F0A8: D3B04004 1C209D04
	v_pk_fma_f32 v[6:7], v[6:7], s[78:79], v[8:9]              // 00000000F0B0: D3B04006 1C209D06
	v_pk_mul_f32 v[4:5], v[4:5], v[84:85]                      // 00000000F0B8: D3B14004 1802A904
	v_pk_mul_f32 v[6:7], v[6:7], v[86:87]                      // 00000000F0C0: D3B14006 1802AD06
	v_pk_mul_f32 v[4:5], v[4:5], s[60:61]                      // 00000000F0C8: D3B14004 18007904
	v_pk_mul_f32 v[6:7], v[6:7], s[60:61]                      // 00000000F0D0: D3B14006 18007906
	v_exp_f32_e32 v4, v4                                       // 00000000F0D8: 7E084104
	v_exp_f32_e32 v5, v5                                       // 00000000F0DC: 7E0A4105
	v_exp_f32_e32 v6, v6                                       // 00000000F0E0: 7E0C4106
	v_exp_f32_e32 v7, v7                                       // 00000000F0E4: 7E0E4107
	v_add_f32_e64 v4, v4, 1.0                                  // 00000000F0E8: D1010004 0001E504
	v_add_f32_e64 v5, v5, 1.0                                  // 00000000F0F0: D1010005 0001E505
	v_add_f32_e64 v6, v6, 1.0                                  // 00000000F0F8: D1010006 0001E506
	v_add_f32_e64 v7, v7, 1.0                                  // 00000000F100: D1010007 0001E507
	v_rcp_f32_e32 v4, v4                                       // 00000000F108: 7E084504
	v_rcp_f32_e32 v5, v5                                       // 00000000F10C: 7E0A4505
	v_rcp_f32_e32 v6, v6                                       // 00000000F110: 7E0C4506
	v_rcp_f32_e32 v7, v7                                       // 00000000F114: 7E0E4507
	v_mul_f32_e32 v84, v84, v4                                 // 00000000F118: 0AA80954
	v_mul_f32_e32 v85, v85, v5                                 // 00000000F11C: 0AAA0B55
	v_mul_f32_e32 v86, v86, v6                                 // 00000000F120: 0AAC0D56
	v_mul_f32_e32 v87, v87, v7                                 // 00000000F124: 0AAE0F57
	v_mul_f32_e32 v84, v84, v148                               // 00000000F128: 0AA92954
	v_mul_f32_e32 v85, v85, v149                               // 00000000F12C: 0AAB2B55
	v_mul_f32_e32 v86, v86, v150                               // 00000000F130: 0AAD2D56
	v_mul_f32_e32 v87, v87, v151                               // 00000000F134: 0AAF2F57
	v_pk_mul_f32 v[4:5], v[88:89], v[88:89]                    // 00000000F138: D3B14004 1802B158
	v_pk_mul_f32 v[6:7], v[90:91], v[90:91]                    // 00000000F140: D3B14006 1802B55A
	v_pk_fma_f32 v[4:5], v[4:5], s[78:79], v[8:9]              // 00000000F148: D3B04004 1C209D04
	v_pk_fma_f32 v[6:7], v[6:7], s[78:79], v[8:9]              // 00000000F150: D3B04006 1C209D06
	v_pk_mul_f32 v[4:5], v[4:5], v[88:89]                      // 00000000F158: D3B14004 1802B104
	v_pk_mul_f32 v[6:7], v[6:7], v[90:91]                      // 00000000F160: D3B14006 1802B506
	v_pk_mul_f32 v[4:5], v[4:5], s[60:61]                      // 00000000F168: D3B14004 18007904
	v_pk_mul_f32 v[6:7], v[6:7], s[60:61]                      // 00000000F170: D3B14006 18007906
	v_exp_f32_e32 v4, v4                                       // 00000000F178: 7E084104
	v_exp_f32_e32 v5, v5                                       // 00000000F17C: 7E0A4105
	v_exp_f32_e32 v6, v6                                       // 00000000F180: 7E0C4106
	v_exp_f32_e32 v7, v7                                       // 00000000F184: 7E0E4107
	v_add_f32_e64 v4, v4, 1.0                                  // 00000000F188: D1010004 0001E504
	v_add_f32_e64 v5, v5, 1.0                                  // 00000000F190: D1010005 0001E505
	v_add_f32_e64 v6, v6, 1.0                                  // 00000000F198: D1010006 0001E506
	v_add_f32_e64 v7, v7, 1.0                                  // 00000000F1A0: D1010007 0001E507
	v_rcp_f32_e32 v4, v4                                       // 00000000F1A8: 7E084504
	v_rcp_f32_e32 v5, v5                                       // 00000000F1AC: 7E0A4505
	v_rcp_f32_e32 v6, v6                                       // 00000000F1B0: 7E0C4506
	v_rcp_f32_e32 v7, v7                                       // 00000000F1B4: 7E0E4507
	v_mul_f32_e32 v88, v88, v4                                 // 00000000F1B8: 0AB00958
	v_mul_f32_e32 v89, v89, v5                                 // 00000000F1BC: 0AB20B59
	v_mul_f32_e32 v90, v90, v6                                 // 00000000F1C0: 0AB40D5A
	v_mul_f32_e32 v91, v91, v7                                 // 00000000F1C4: 0AB60F5B
	v_mul_f32_e32 v88, v88, v152                               // 00000000F1C8: 0AB13158
	v_mul_f32_e32 v89, v89, v153                               // 00000000F1CC: 0AB33359
	v_mul_f32_e32 v90, v90, v154                               // 00000000F1D0: 0AB5355A
	v_mul_f32_e32 v91, v91, v155                               // 00000000F1D4: 0AB7375B
	v_pk_mul_f32 v[4:5], v[92:93], v[92:93]                    // 00000000F1D8: D3B14004 1802B95C
	v_pk_mul_f32 v[6:7], v[94:95], v[94:95]                    // 00000000F1E0: D3B14006 1802BD5E
	v_pk_fma_f32 v[4:5], v[4:5], s[78:79], v[8:9]              // 00000000F1E8: D3B04004 1C209D04
	v_pk_fma_f32 v[6:7], v[6:7], s[78:79], v[8:9]              // 00000000F1F0: D3B04006 1C209D06
	v_pk_mul_f32 v[4:5], v[4:5], v[92:93]                      // 00000000F1F8: D3B14004 1802B904
	v_pk_mul_f32 v[6:7], v[6:7], v[94:95]                      // 00000000F200: D3B14006 1802BD06
	v_pk_mul_f32 v[4:5], v[4:5], s[60:61]                      // 00000000F208: D3B14004 18007904
	v_pk_mul_f32 v[6:7], v[6:7], s[60:61]                      // 00000000F210: D3B14006 18007906
	v_exp_f32_e32 v4, v4                                       // 00000000F218: 7E084104
	v_exp_f32_e32 v5, v5                                       // 00000000F21C: 7E0A4105
	v_exp_f32_e32 v6, v6                                       // 00000000F220: 7E0C4106
	v_exp_f32_e32 v7, v7                                       // 00000000F224: 7E0E4107
	v_add_f32_e64 v4, v4, 1.0                                  // 00000000F228: D1010004 0001E504
	v_add_f32_e64 v5, v5, 1.0                                  // 00000000F230: D1010005 0001E505
	v_add_f32_e64 v6, v6, 1.0                                  // 00000000F238: D1010006 0001E506
	v_add_f32_e64 v7, v7, 1.0                                  // 00000000F240: D1010007 0001E507
	v_rcp_f32_e32 v4, v4                                       // 00000000F248: 7E084504
	v_rcp_f32_e32 v5, v5                                       // 00000000F24C: 7E0A4505
	v_rcp_f32_e32 v6, v6                                       // 00000000F250: 7E0C4506
	v_rcp_f32_e32 v7, v7                                       // 00000000F254: 7E0E4507
	v_mul_f32_e32 v92, v92, v4                                 // 00000000F258: 0AB8095C
	v_mul_f32_e32 v93, v93, v5                                 // 00000000F25C: 0ABA0B5D
	v_mul_f32_e32 v94, v94, v6                                 // 00000000F260: 0ABC0D5E
	v_mul_f32_e32 v95, v95, v7                                 // 00000000F264: 0ABE0F5F
	v_mul_f32_e32 v92, v92, v156                               // 00000000F268: 0AB9395C
	v_mul_f32_e32 v93, v93, v157                               // 00000000F26C: 0ABB3B5D
	v_mul_f32_e32 v94, v94, v158                               // 00000000F270: 0ABD3D5E
	v_mul_f32_e32 v95, v95, v159                               // 00000000F274: 0ABF3F5F
	v_pk_mul_f32 v[4:5], v[96:97], v[96:97]                    // 00000000F278: D3B14004 1802C160
	v_pk_mul_f32 v[6:7], v[98:99], v[98:99]                    // 00000000F280: D3B14006 1802C562
	v_pk_fma_f32 v[4:5], v[4:5], s[78:79], v[8:9]              // 00000000F288: D3B04004 1C209D04
	v_pk_fma_f32 v[6:7], v[6:7], s[78:79], v[8:9]              // 00000000F290: D3B04006 1C209D06
	v_pk_mul_f32 v[4:5], v[4:5], v[96:97]                      // 00000000F298: D3B14004 1802C104
	v_pk_mul_f32 v[6:7], v[6:7], v[98:99]                      // 00000000F2A0: D3B14006 1802C506
	v_pk_mul_f32 v[4:5], v[4:5], s[60:61]                      // 00000000F2A8: D3B14004 18007904
	v_pk_mul_f32 v[6:7], v[6:7], s[60:61]                      // 00000000F2B0: D3B14006 18007906
	v_exp_f32_e32 v4, v4                                       // 00000000F2B8: 7E084104
	v_exp_f32_e32 v5, v5                                       // 00000000F2BC: 7E0A4105
	v_exp_f32_e32 v6, v6                                       // 00000000F2C0: 7E0C4106
	v_exp_f32_e32 v7, v7                                       // 00000000F2C4: 7E0E4107
	v_add_f32_e64 v4, v4, 1.0                                  // 00000000F2C8: D1010004 0001E504
	v_add_f32_e64 v5, v5, 1.0                                  // 00000000F2D0: D1010005 0001E505
	v_add_f32_e64 v6, v6, 1.0                                  // 00000000F2D8: D1010006 0001E506
	v_add_f32_e64 v7, v7, 1.0                                  // 00000000F2E0: D1010007 0001E507
	v_rcp_f32_e32 v4, v4                                       // 00000000F2E8: 7E084504
	v_rcp_f32_e32 v5, v5                                       // 00000000F2EC: 7E0A4505
	v_rcp_f32_e32 v6, v6                                       // 00000000F2F0: 7E0C4506
	v_rcp_f32_e32 v7, v7                                       // 00000000F2F4: 7E0E4507
	v_mul_f32_e32 v96, v96, v4                                 // 00000000F2F8: 0AC00960
	v_mul_f32_e32 v97, v97, v5                                 // 00000000F2FC: 0AC20B61
	v_mul_f32_e32 v98, v98, v6                                 // 00000000F300: 0AC40D62
	v_mul_f32_e32 v99, v99, v7                                 // 00000000F304: 0AC60F63
	v_mul_f32_e32 v96, v96, v160                               // 00000000F308: 0AC14160
	v_mul_f32_e32 v97, v97, v161                               // 00000000F30C: 0AC34361
	v_mul_f32_e32 v98, v98, v162                               // 00000000F310: 0AC54562
	v_mul_f32_e32 v99, v99, v163                               // 00000000F314: 0AC74763
	v_pk_mul_f32 v[4:5], v[100:101], v[100:101]                // 00000000F318: D3B14004 1802C964
	v_pk_mul_f32 v[6:7], v[102:103], v[102:103]                // 00000000F320: D3B14006 1802CD66
	v_pk_fma_f32 v[4:5], v[4:5], s[78:79], v[8:9]              // 00000000F328: D3B04004 1C209D04
	v_pk_fma_f32 v[6:7], v[6:7], s[78:79], v[8:9]              // 00000000F330: D3B04006 1C209D06
	v_pk_mul_f32 v[4:5], v[4:5], v[100:101]                    // 00000000F338: D3B14004 1802C904
	v_pk_mul_f32 v[6:7], v[6:7], v[102:103]                    // 00000000F340: D3B14006 1802CD06
	v_pk_mul_f32 v[4:5], v[4:5], s[60:61]                      // 00000000F348: D3B14004 18007904
	v_pk_mul_f32 v[6:7], v[6:7], s[60:61]                      // 00000000F350: D3B14006 18007906
	v_exp_f32_e32 v4, v4                                       // 00000000F358: 7E084104
	v_exp_f32_e32 v5, v5                                       // 00000000F35C: 7E0A4105
	v_exp_f32_e32 v6, v6                                       // 00000000F360: 7E0C4106
	v_exp_f32_e32 v7, v7                                       // 00000000F364: 7E0E4107
	v_add_f32_e64 v4, v4, 1.0                                  // 00000000F368: D1010004 0001E504
	v_add_f32_e64 v5, v5, 1.0                                  // 00000000F370: D1010005 0001E505
	v_add_f32_e64 v6, v6, 1.0                                  // 00000000F378: D1010006 0001E506
	v_add_f32_e64 v7, v7, 1.0                                  // 00000000F380: D1010007 0001E507
	v_rcp_f32_e32 v4, v4                                       // 00000000F388: 7E084504
	v_rcp_f32_e32 v5, v5                                       // 00000000F38C: 7E0A4505
	v_rcp_f32_e32 v6, v6                                       // 00000000F390: 7E0C4506
	v_rcp_f32_e32 v7, v7                                       // 00000000F394: 7E0E4507
	v_mul_f32_e32 v100, v100, v4                               // 00000000F398: 0AC80964
	v_mul_f32_e32 v101, v101, v5                               // 00000000F39C: 0ACA0B65
	v_mul_f32_e32 v102, v102, v6                               // 00000000F3A0: 0ACC0D66
	v_mul_f32_e32 v103, v103, v7                               // 00000000F3A4: 0ACE0F67
	v_mul_f32_e32 v100, v100, v164                             // 00000000F3A8: 0AC94964
	v_mul_f32_e32 v101, v101, v165                             // 00000000F3AC: 0ACB4B65
	v_mul_f32_e32 v102, v102, v166                             // 00000000F3B0: 0ACD4D66
	v_mul_f32_e32 v103, v103, v167                             // 00000000F3B4: 0ACF4F67
	v_pk_mul_f32 v[4:5], v[104:105], v[104:105]                // 00000000F3B8: D3B14004 1802D168
	v_pk_mul_f32 v[6:7], v[106:107], v[106:107]                // 00000000F3C0: D3B14006 1802D56A
	v_pk_fma_f32 v[4:5], v[4:5], s[78:79], v[8:9]              // 00000000F3C8: D3B04004 1C209D04
	v_pk_fma_f32 v[6:7], v[6:7], s[78:79], v[8:9]              // 00000000F3D0: D3B04006 1C209D06
	v_pk_mul_f32 v[4:5], v[4:5], v[104:105]                    // 00000000F3D8: D3B14004 1802D104
	v_pk_mul_f32 v[6:7], v[6:7], v[106:107]                    // 00000000F3E0: D3B14006 1802D506
	v_pk_mul_f32 v[4:5], v[4:5], s[60:61]                      // 00000000F3E8: D3B14004 18007904
	v_pk_mul_f32 v[6:7], v[6:7], s[60:61]                      // 00000000F3F0: D3B14006 18007906
	v_exp_f32_e32 v4, v4                                       // 00000000F3F8: 7E084104
	v_exp_f32_e32 v5, v5                                       // 00000000F3FC: 7E0A4105
	v_exp_f32_e32 v6, v6                                       // 00000000F400: 7E0C4106
	v_exp_f32_e32 v7, v7                                       // 00000000F404: 7E0E4107
	v_add_f32_e64 v4, v4, 1.0                                  // 00000000F408: D1010004 0001E504
	v_add_f32_e64 v5, v5, 1.0                                  // 00000000F410: D1010005 0001E505
	v_add_f32_e64 v6, v6, 1.0                                  // 00000000F418: D1010006 0001E506
	v_add_f32_e64 v7, v7, 1.0                                  // 00000000F420: D1010007 0001E507
	v_rcp_f32_e32 v4, v4                                       // 00000000F428: 7E084504
	v_rcp_f32_e32 v5, v5                                       // 00000000F42C: 7E0A4505
	v_rcp_f32_e32 v6, v6                                       // 00000000F430: 7E0C4506
	v_rcp_f32_e32 v7, v7                                       // 00000000F434: 7E0E4507
	v_mul_f32_e32 v104, v104, v4                               // 00000000F438: 0AD00968
	v_mul_f32_e32 v105, v105, v5                               // 00000000F43C: 0AD20B69
	v_mul_f32_e32 v106, v106, v6                               // 00000000F440: 0AD40D6A
	v_mul_f32_e32 v107, v107, v7                               // 00000000F444: 0AD60F6B
	v_mul_f32_e32 v104, v104, v168                             // 00000000F448: 0AD15168
	v_mul_f32_e32 v105, v105, v169                             // 00000000F44C: 0AD35369
	v_mul_f32_e32 v106, v106, v170                             // 00000000F450: 0AD5556A
	v_mul_f32_e32 v107, v107, v171                             // 00000000F454: 0AD7576B
	v_pk_mul_f32 v[4:5], v[108:109], v[108:109]                // 00000000F458: D3B14004 1802D96C
	v_pk_mul_f32 v[6:7], v[110:111], v[110:111]                // 00000000F460: D3B14006 1802DD6E
	v_pk_fma_f32 v[4:5], v[4:5], s[78:79], v[8:9]              // 00000000F468: D3B04004 1C209D04
	v_pk_fma_f32 v[6:7], v[6:7], s[78:79], v[8:9]              // 00000000F470: D3B04006 1C209D06
	v_pk_mul_f32 v[4:5], v[4:5], v[108:109]                    // 00000000F478: D3B14004 1802D904
	v_pk_mul_f32 v[6:7], v[6:7], v[110:111]                    // 00000000F480: D3B14006 1802DD06
	v_pk_mul_f32 v[4:5], v[4:5], s[60:61]                      // 00000000F488: D3B14004 18007904
	v_pk_mul_f32 v[6:7], v[6:7], s[60:61]                      // 00000000F490: D3B14006 18007906
	v_exp_f32_e32 v4, v4                                       // 00000000F498: 7E084104
	v_exp_f32_e32 v5, v5                                       // 00000000F49C: 7E0A4105
	v_exp_f32_e32 v6, v6                                       // 00000000F4A0: 7E0C4106
	v_exp_f32_e32 v7, v7                                       // 00000000F4A4: 7E0E4107
	v_add_f32_e64 v4, v4, 1.0                                  // 00000000F4A8: D1010004 0001E504
	v_add_f32_e64 v5, v5, 1.0                                  // 00000000F4B0: D1010005 0001E505
	v_add_f32_e64 v6, v6, 1.0                                  // 00000000F4B8: D1010006 0001E506
	v_add_f32_e64 v7, v7, 1.0                                  // 00000000F4C0: D1010007 0001E507
	v_rcp_f32_e32 v4, v4                                       // 00000000F4C8: 7E084504
	v_rcp_f32_e32 v5, v5                                       // 00000000F4CC: 7E0A4505
	v_rcp_f32_e32 v6, v6                                       // 00000000F4D0: 7E0C4506
	v_rcp_f32_e32 v7, v7                                       // 00000000F4D4: 7E0E4507
	v_mul_f32_e32 v108, v108, v4                               // 00000000F4D8: 0AD8096C
	v_mul_f32_e32 v109, v109, v5                               // 00000000F4DC: 0ADA0B6D
	v_mul_f32_e32 v110, v110, v6                               // 00000000F4E0: 0ADC0D6E
	v_mul_f32_e32 v111, v111, v7                               // 00000000F4E4: 0ADE0F6F
	v_mul_f32_e32 v108, v108, v172                             // 00000000F4E8: 0AD9596C
	v_mul_f32_e32 v109, v109, v173                             // 00000000F4EC: 0ADB5B6D
	v_mul_f32_e32 v110, v110, v174                             // 00000000F4F0: 0ADD5D6E
	v_mul_f32_e32 v111, v111, v175                             // 00000000F4F4: 0ADF5F6F
	v_pk_mul_f32 v[4:5], v[112:113], v[112:113]                // 00000000F4F8: D3B14004 1802E170
	v_pk_mul_f32 v[6:7], v[114:115], v[114:115]                // 00000000F500: D3B14006 1802E572
	v_pk_fma_f32 v[4:5], v[4:5], s[78:79], v[8:9]              // 00000000F508: D3B04004 1C209D04
	v_pk_fma_f32 v[6:7], v[6:7], s[78:79], v[8:9]              // 00000000F510: D3B04006 1C209D06
	v_pk_mul_f32 v[4:5], v[4:5], v[112:113]                    // 00000000F518: D3B14004 1802E104
	v_pk_mul_f32 v[6:7], v[6:7], v[114:115]                    // 00000000F520: D3B14006 1802E506
	v_pk_mul_f32 v[4:5], v[4:5], s[60:61]                      // 00000000F528: D3B14004 18007904
	v_pk_mul_f32 v[6:7], v[6:7], s[60:61]                      // 00000000F530: D3B14006 18007906
	v_exp_f32_e32 v4, v4                                       // 00000000F538: 7E084104
	v_exp_f32_e32 v5, v5                                       // 00000000F53C: 7E0A4105
	v_exp_f32_e32 v6, v6                                       // 00000000F540: 7E0C4106
	v_exp_f32_e32 v7, v7                                       // 00000000F544: 7E0E4107
	v_add_f32_e64 v4, v4, 1.0                                  // 00000000F548: D1010004 0001E504
	v_add_f32_e64 v5, v5, 1.0                                  // 00000000F550: D1010005 0001E505
	v_add_f32_e64 v6, v6, 1.0                                  // 00000000F558: D1010006 0001E506
	v_add_f32_e64 v7, v7, 1.0                                  // 00000000F560: D1010007 0001E507
	v_rcp_f32_e32 v4, v4                                       // 00000000F568: 7E084504
	v_rcp_f32_e32 v5, v5                                       // 00000000F56C: 7E0A4505
	v_rcp_f32_e32 v6, v6                                       // 00000000F570: 7E0C4506
	v_rcp_f32_e32 v7, v7                                       // 00000000F574: 7E0E4507
	v_mul_f32_e32 v112, v112, v4                               // 00000000F578: 0AE00970
	v_mul_f32_e32 v113, v113, v5                               // 00000000F57C: 0AE20B71
	v_mul_f32_e32 v114, v114, v6                               // 00000000F580: 0AE40D72
	v_mul_f32_e32 v115, v115, v7                               // 00000000F584: 0AE60F73
	v_mul_f32_e32 v112, v112, v176                             // 00000000F588: 0AE16170
	v_mul_f32_e32 v113, v113, v177                             // 00000000F58C: 0AE36371
	v_mul_f32_e32 v114, v114, v178                             // 00000000F590: 0AE56572
	v_mul_f32_e32 v115, v115, v179                             // 00000000F594: 0AE76773
	v_pk_mul_f32 v[4:5], v[116:117], v[116:117]                // 00000000F598: D3B14004 1802E974
	v_pk_mul_f32 v[6:7], v[118:119], v[118:119]                // 00000000F5A0: D3B14006 1802ED76
	v_pk_fma_f32 v[4:5], v[4:5], s[78:79], v[8:9]              // 00000000F5A8: D3B04004 1C209D04
	v_pk_fma_f32 v[6:7], v[6:7], s[78:79], v[8:9]              // 00000000F5B0: D3B04006 1C209D06
	v_pk_mul_f32 v[4:5], v[4:5], v[116:117]                    // 00000000F5B8: D3B14004 1802E904
	v_pk_mul_f32 v[6:7], v[6:7], v[118:119]                    // 00000000F5C0: D3B14006 1802ED06
	v_pk_mul_f32 v[4:5], v[4:5], s[60:61]                      // 00000000F5C8: D3B14004 18007904
	v_pk_mul_f32 v[6:7], v[6:7], s[60:61]                      // 00000000F5D0: D3B14006 18007906
	v_exp_f32_e32 v4, v4                                       // 00000000F5D8: 7E084104
	v_exp_f32_e32 v5, v5                                       // 00000000F5DC: 7E0A4105
	v_exp_f32_e32 v6, v6                                       // 00000000F5E0: 7E0C4106
	v_exp_f32_e32 v7, v7                                       // 00000000F5E4: 7E0E4107
	v_add_f32_e64 v4, v4, 1.0                                  // 00000000F5E8: D1010004 0001E504
	v_add_f32_e64 v5, v5, 1.0                                  // 00000000F5F0: D1010005 0001E505
	v_add_f32_e64 v6, v6, 1.0                                  // 00000000F5F8: D1010006 0001E506
	v_add_f32_e64 v7, v7, 1.0                                  // 00000000F600: D1010007 0001E507
	v_rcp_f32_e32 v4, v4                                       // 00000000F608: 7E084504
	v_rcp_f32_e32 v5, v5                                       // 00000000F60C: 7E0A4505
	v_rcp_f32_e32 v6, v6                                       // 00000000F610: 7E0C4506
	v_rcp_f32_e32 v7, v7                                       // 00000000F614: 7E0E4507
	v_mul_f32_e32 v116, v116, v4                               // 00000000F618: 0AE80974
	v_mul_f32_e32 v117, v117, v5                               // 00000000F61C: 0AEA0B75
	v_mul_f32_e32 v118, v118, v6                               // 00000000F620: 0AEC0D76
	v_mul_f32_e32 v119, v119, v7                               // 00000000F624: 0AEE0F77
	v_mul_f32_e32 v116, v116, v180                             // 00000000F628: 0AE96974
	v_mul_f32_e32 v117, v117, v181                             // 00000000F62C: 0AEB6B75
	v_mul_f32_e32 v118, v118, v182                             // 00000000F630: 0AED6D76
	v_mul_f32_e32 v119, v119, v183                             // 00000000F634: 0AEF6F77
	v_pk_mul_f32 v[4:5], v[120:121], v[120:121]                // 00000000F638: D3B14004 1802F178
	v_pk_mul_f32 v[6:7], v[122:123], v[122:123]                // 00000000F640: D3B14006 1802F57A
	v_pk_fma_f32 v[4:5], v[4:5], s[78:79], v[8:9]              // 00000000F648: D3B04004 1C209D04
	v_pk_fma_f32 v[6:7], v[6:7], s[78:79], v[8:9]              // 00000000F650: D3B04006 1C209D06
	v_pk_mul_f32 v[4:5], v[4:5], v[120:121]                    // 00000000F658: D3B14004 1802F104
	v_pk_mul_f32 v[6:7], v[6:7], v[122:123]                    // 00000000F660: D3B14006 1802F506
	v_pk_mul_f32 v[4:5], v[4:5], s[60:61]                      // 00000000F668: D3B14004 18007904
	v_pk_mul_f32 v[6:7], v[6:7], s[60:61]                      // 00000000F670: D3B14006 18007906
	v_exp_f32_e32 v4, v4                                       // 00000000F678: 7E084104
	v_exp_f32_e32 v5, v5                                       // 00000000F67C: 7E0A4105
	v_exp_f32_e32 v6, v6                                       // 00000000F680: 7E0C4106
	v_exp_f32_e32 v7, v7                                       // 00000000F684: 7E0E4107
	v_add_f32_e64 v4, v4, 1.0                                  // 00000000F688: D1010004 0001E504
	v_add_f32_e64 v5, v5, 1.0                                  // 00000000F690: D1010005 0001E505
	v_add_f32_e64 v6, v6, 1.0                                  // 00000000F698: D1010006 0001E506
	v_add_f32_e64 v7, v7, 1.0                                  // 00000000F6A0: D1010007 0001E507
	v_rcp_f32_e32 v4, v4                                       // 00000000F6A8: 7E084504
	v_rcp_f32_e32 v5, v5                                       // 00000000F6AC: 7E0A4505
	v_rcp_f32_e32 v6, v6                                       // 00000000F6B0: 7E0C4506
	v_rcp_f32_e32 v7, v7                                       // 00000000F6B4: 7E0E4507
	v_mul_f32_e32 v120, v120, v4                               // 00000000F6B8: 0AF00978
	v_mul_f32_e32 v121, v121, v5                               // 00000000F6BC: 0AF20B79
	v_mul_f32_e32 v122, v122, v6                               // 00000000F6C0: 0AF40D7A
	v_mul_f32_e32 v123, v123, v7                               // 00000000F6C4: 0AF60F7B
	v_mul_f32_e32 v120, v120, v184                             // 00000000F6C8: 0AF17178
	v_mul_f32_e32 v121, v121, v185                             // 00000000F6CC: 0AF37379
	v_mul_f32_e32 v122, v122, v186                             // 00000000F6D0: 0AF5757A
	v_mul_f32_e32 v123, v123, v187                             // 00000000F6D4: 0AF7777B
	s_branch label_353A                                        // 00000000F6D8: BF820200

000000000000f6dc <label_333A>:
	v_mul_f32_e64 v4, -v60, s6                                 // 00000000F6DC: D1050004 20000D3C
	v_mul_f32_e64 v5, -v61, s6                                 // 00000000F6E4: D1050005 20000D3D
	v_mul_f32_e64 v6, -v62, s6                                 // 00000000F6EC: D1050006 20000D3E
	v_mul_f32_e64 v7, -v63, s6                                 // 00000000F6F4: D1050007 20000D3F
	v_exp_f32_e32 v4, v4                                       // 00000000F6FC: 7E084104
	v_exp_f32_e32 v5, v5                                       // 00000000F700: 7E0A4105
	v_exp_f32_e32 v6, v6                                       // 00000000F704: 7E0C4106
	v_exp_f32_e32 v7, v7                                       // 00000000F708: 7E0E4107
	v_add_f32_e64 v4, v4, 1.0                                  // 00000000F70C: D1010004 0001E504
	v_add_f32_e64 v5, v5, 1.0                                  // 00000000F714: D1010005 0001E505
	v_add_f32_e64 v6, v6, 1.0                                  // 00000000F71C: D1010006 0001E506
	v_add_f32_e64 v7, v7, 1.0                                  // 00000000F724: D1010007 0001E507
	v_rcp_f32_e32 v4, v4                                       // 00000000F72C: 7E084504
	v_rcp_f32_e32 v5, v5                                       // 00000000F730: 7E0A4505
	v_rcp_f32_e32 v6, v6                                       // 00000000F734: 7E0C4506
	v_rcp_f32_e32 v7, v7                                       // 00000000F738: 7E0E4507
	v_mul_f32_e32 v60, v60, v4                                 // 00000000F73C: 0A78093C
	v_mul_f32_e32 v61, v61, v5                                 // 00000000F740: 0A7A0B3D
	v_mul_f32_e32 v62, v62, v6                                 // 00000000F744: 0A7C0D3E
	v_mul_f32_e32 v63, v63, v7                                 // 00000000F748: 0A7E0F3F
	v_mul_f32_e32 v60, v60, v124                               // 00000000F74C: 0A78F93C
	v_mul_f32_e32 v61, v61, v125                               // 00000000F750: 0A7AFB3D
	v_mul_f32_e32 v62, v62, v126                               // 00000000F754: 0A7CFD3E
	v_mul_f32_e32 v63, v63, v127                               // 00000000F758: 0A7EFF3F
	v_mul_f32_e64 v4, -v64, s6                                 // 00000000F75C: D1050004 20000D40
	v_mul_f32_e64 v5, -v65, s6                                 // 00000000F764: D1050005 20000D41
	v_mul_f32_e64 v6, -v66, s6                                 // 00000000F76C: D1050006 20000D42
	v_mul_f32_e64 v7, -v67, s6                                 // 00000000F774: D1050007 20000D43
	v_exp_f32_e32 v4, v4                                       // 00000000F77C: 7E084104
	v_exp_f32_e32 v5, v5                                       // 00000000F780: 7E0A4105
	v_exp_f32_e32 v6, v6                                       // 00000000F784: 7E0C4106
	v_exp_f32_e32 v7, v7                                       // 00000000F788: 7E0E4107
	v_add_f32_e64 v4, v4, 1.0                                  // 00000000F78C: D1010004 0001E504
	v_add_f32_e64 v5, v5, 1.0                                  // 00000000F794: D1010005 0001E505
	v_add_f32_e64 v6, v6, 1.0                                  // 00000000F79C: D1010006 0001E506
	v_add_f32_e64 v7, v7, 1.0                                  // 00000000F7A4: D1010007 0001E507
	v_rcp_f32_e32 v4, v4                                       // 00000000F7AC: 7E084504
	v_rcp_f32_e32 v5, v5                                       // 00000000F7B0: 7E0A4505
	v_rcp_f32_e32 v6, v6                                       // 00000000F7B4: 7E0C4506
	v_rcp_f32_e32 v7, v7                                       // 00000000F7B8: 7E0E4507
	v_mul_f32_e32 v64, v64, v4                                 // 00000000F7BC: 0A800940
	v_mul_f32_e32 v65, v65, v5                                 // 00000000F7C0: 0A820B41
	v_mul_f32_e32 v66, v66, v6                                 // 00000000F7C4: 0A840D42
	v_mul_f32_e32 v67, v67, v7                                 // 00000000F7C8: 0A860F43
	v_mul_f32_e32 v64, v64, v128                               // 00000000F7CC: 0A810140
	v_mul_f32_e32 v65, v65, v129                               // 00000000F7D0: 0A830341
	v_mul_f32_e32 v66, v66, v130                               // 00000000F7D4: 0A850542
	v_mul_f32_e32 v67, v67, v131                               // 00000000F7D8: 0A870743
	v_mul_f32_e64 v4, -v68, s6                                 // 00000000F7DC: D1050004 20000D44
	v_mul_f32_e64 v5, -v69, s6                                 // 00000000F7E4: D1050005 20000D45
	v_mul_f32_e64 v6, -v70, s6                                 // 00000000F7EC: D1050006 20000D46
	v_mul_f32_e64 v7, -v71, s6                                 // 00000000F7F4: D1050007 20000D47
	v_exp_f32_e32 v4, v4                                       // 00000000F7FC: 7E084104
	v_exp_f32_e32 v5, v5                                       // 00000000F800: 7E0A4105
	v_exp_f32_e32 v6, v6                                       // 00000000F804: 7E0C4106
	v_exp_f32_e32 v7, v7                                       // 00000000F808: 7E0E4107
	v_add_f32_e64 v4, v4, 1.0                                  // 00000000F80C: D1010004 0001E504
	v_add_f32_e64 v5, v5, 1.0                                  // 00000000F814: D1010005 0001E505
	v_add_f32_e64 v6, v6, 1.0                                  // 00000000F81C: D1010006 0001E506
	v_add_f32_e64 v7, v7, 1.0                                  // 00000000F824: D1010007 0001E507
	v_rcp_f32_e32 v4, v4                                       // 00000000F82C: 7E084504
	v_rcp_f32_e32 v5, v5                                       // 00000000F830: 7E0A4505
	v_rcp_f32_e32 v6, v6                                       // 00000000F834: 7E0C4506
	v_rcp_f32_e32 v7, v7                                       // 00000000F838: 7E0E4507
	v_mul_f32_e32 v68, v68, v4                                 // 00000000F83C: 0A880944
	v_mul_f32_e32 v69, v69, v5                                 // 00000000F840: 0A8A0B45
	v_mul_f32_e32 v70, v70, v6                                 // 00000000F844: 0A8C0D46
	v_mul_f32_e32 v71, v71, v7                                 // 00000000F848: 0A8E0F47
	v_mul_f32_e32 v68, v68, v132                               // 00000000F84C: 0A890944
	v_mul_f32_e32 v69, v69, v133                               // 00000000F850: 0A8B0B45
	v_mul_f32_e32 v70, v70, v134                               // 00000000F854: 0A8D0D46
	v_mul_f32_e32 v71, v71, v135                               // 00000000F858: 0A8F0F47
	v_mul_f32_e64 v4, -v72, s6                                 // 00000000F85C: D1050004 20000D48
	v_mul_f32_e64 v5, -v73, s6                                 // 00000000F864: D1050005 20000D49
	v_mul_f32_e64 v6, -v74, s6                                 // 00000000F86C: D1050006 20000D4A
	v_mul_f32_e64 v7, -v75, s6                                 // 00000000F874: D1050007 20000D4B
	v_exp_f32_e32 v4, v4                                       // 00000000F87C: 7E084104
	v_exp_f32_e32 v5, v5                                       // 00000000F880: 7E0A4105
	v_exp_f32_e32 v6, v6                                       // 00000000F884: 7E0C4106
	v_exp_f32_e32 v7, v7                                       // 00000000F888: 7E0E4107
	v_add_f32_e64 v4, v4, 1.0                                  // 00000000F88C: D1010004 0001E504
	v_add_f32_e64 v5, v5, 1.0                                  // 00000000F894: D1010005 0001E505
	v_add_f32_e64 v6, v6, 1.0                                  // 00000000F89C: D1010006 0001E506
	v_add_f32_e64 v7, v7, 1.0                                  // 00000000F8A4: D1010007 0001E507
	v_rcp_f32_e32 v4, v4                                       // 00000000F8AC: 7E084504
	v_rcp_f32_e32 v5, v5                                       // 00000000F8B0: 7E0A4505
	v_rcp_f32_e32 v6, v6                                       // 00000000F8B4: 7E0C4506
	v_rcp_f32_e32 v7, v7                                       // 00000000F8B8: 7E0E4507
	v_mul_f32_e32 v72, v72, v4                                 // 00000000F8BC: 0A900948
	v_mul_f32_e32 v73, v73, v5                                 // 00000000F8C0: 0A920B49
	v_mul_f32_e32 v74, v74, v6                                 // 00000000F8C4: 0A940D4A
	v_mul_f32_e32 v75, v75, v7                                 // 00000000F8C8: 0A960F4B
	v_mul_f32_e32 v72, v72, v136                               // 00000000F8CC: 0A911148
	v_mul_f32_e32 v73, v73, v137                               // 00000000F8D0: 0A931349
	v_mul_f32_e32 v74, v74, v138                               // 00000000F8D4: 0A95154A
	v_mul_f32_e32 v75, v75, v139                               // 00000000F8D8: 0A97174B
	v_mul_f32_e64 v4, -v76, s6                                 // 00000000F8DC: D1050004 20000D4C
	v_mul_f32_e64 v5, -v77, s6                                 // 00000000F8E4: D1050005 20000D4D
	v_mul_f32_e64 v6, -v78, s6                                 // 00000000F8EC: D1050006 20000D4E
	v_mul_f32_e64 v7, -v79, s6                                 // 00000000F8F4: D1050007 20000D4F
	v_exp_f32_e32 v4, v4                                       // 00000000F8FC: 7E084104
	v_exp_f32_e32 v5, v5                                       // 00000000F900: 7E0A4105
	v_exp_f32_e32 v6, v6                                       // 00000000F904: 7E0C4106
	v_exp_f32_e32 v7, v7                                       // 00000000F908: 7E0E4107
	v_add_f32_e64 v4, v4, 1.0                                  // 00000000F90C: D1010004 0001E504
	v_add_f32_e64 v5, v5, 1.0                                  // 00000000F914: D1010005 0001E505
	v_add_f32_e64 v6, v6, 1.0                                  // 00000000F91C: D1010006 0001E506
	v_add_f32_e64 v7, v7, 1.0                                  // 00000000F924: D1010007 0001E507
	v_rcp_f32_e32 v4, v4                                       // 00000000F92C: 7E084504
	v_rcp_f32_e32 v5, v5                                       // 00000000F930: 7E0A4505
	v_rcp_f32_e32 v6, v6                                       // 00000000F934: 7E0C4506
	v_rcp_f32_e32 v7, v7                                       // 00000000F938: 7E0E4507
	v_mul_f32_e32 v76, v76, v4                                 // 00000000F93C: 0A98094C
	v_mul_f32_e32 v77, v77, v5                                 // 00000000F940: 0A9A0B4D
	v_mul_f32_e32 v78, v78, v6                                 // 00000000F944: 0A9C0D4E
	v_mul_f32_e32 v79, v79, v7                                 // 00000000F948: 0A9E0F4F
	v_mul_f32_e32 v76, v76, v140                               // 00000000F94C: 0A99194C
	v_mul_f32_e32 v77, v77, v141                               // 00000000F950: 0A9B1B4D
	v_mul_f32_e32 v78, v78, v142                               // 00000000F954: 0A9D1D4E
	v_mul_f32_e32 v79, v79, v143                               // 00000000F958: 0A9F1F4F
	v_mul_f32_e64 v4, -v80, s6                                 // 00000000F95C: D1050004 20000D50
	v_mul_f32_e64 v5, -v81, s6                                 // 00000000F964: D1050005 20000D51
	v_mul_f32_e64 v6, -v82, s6                                 // 00000000F96C: D1050006 20000D52
	v_mul_f32_e64 v7, -v83, s6                                 // 00000000F974: D1050007 20000D53
	v_exp_f32_e32 v4, v4                                       // 00000000F97C: 7E084104
	v_exp_f32_e32 v5, v5                                       // 00000000F980: 7E0A4105
	v_exp_f32_e32 v6, v6                                       // 00000000F984: 7E0C4106
	v_exp_f32_e32 v7, v7                                       // 00000000F988: 7E0E4107
	v_add_f32_e64 v4, v4, 1.0                                  // 00000000F98C: D1010004 0001E504
	v_add_f32_e64 v5, v5, 1.0                                  // 00000000F994: D1010005 0001E505
	v_add_f32_e64 v6, v6, 1.0                                  // 00000000F99C: D1010006 0001E506
	v_add_f32_e64 v7, v7, 1.0                                  // 00000000F9A4: D1010007 0001E507
	v_rcp_f32_e32 v4, v4                                       // 00000000F9AC: 7E084504
	v_rcp_f32_e32 v5, v5                                       // 00000000F9B0: 7E0A4505
	v_rcp_f32_e32 v6, v6                                       // 00000000F9B4: 7E0C4506
	v_rcp_f32_e32 v7, v7                                       // 00000000F9B8: 7E0E4507
	v_mul_f32_e32 v80, v80, v4                                 // 00000000F9BC: 0AA00950
	v_mul_f32_e32 v81, v81, v5                                 // 00000000F9C0: 0AA20B51
	v_mul_f32_e32 v82, v82, v6                                 // 00000000F9C4: 0AA40D52
	v_mul_f32_e32 v83, v83, v7                                 // 00000000F9C8: 0AA60F53
	v_mul_f32_e32 v80, v80, v144                               // 00000000F9CC: 0AA12150
	v_mul_f32_e32 v81, v81, v145                               // 00000000F9D0: 0AA32351
	v_mul_f32_e32 v82, v82, v146                               // 00000000F9D4: 0AA52552
	v_mul_f32_e32 v83, v83, v147                               // 00000000F9D8: 0AA72753
	v_mul_f32_e64 v4, -v84, s6                                 // 00000000F9DC: D1050004 20000D54
	v_mul_f32_e64 v5, -v85, s6                                 // 00000000F9E4: D1050005 20000D55
	v_mul_f32_e64 v6, -v86, s6                                 // 00000000F9EC: D1050006 20000D56
	v_mul_f32_e64 v7, -v87, s6                                 // 00000000F9F4: D1050007 20000D57
	v_exp_f32_e32 v4, v4                                       // 00000000F9FC: 7E084104
	v_exp_f32_e32 v5, v5                                       // 00000000FA00: 7E0A4105
	v_exp_f32_e32 v6, v6                                       // 00000000FA04: 7E0C4106
	v_exp_f32_e32 v7, v7                                       // 00000000FA08: 7E0E4107
	v_add_f32_e64 v4, v4, 1.0                                  // 00000000FA0C: D1010004 0001E504
	v_add_f32_e64 v5, v5, 1.0                                  // 00000000FA14: D1010005 0001E505
	v_add_f32_e64 v6, v6, 1.0                                  // 00000000FA1C: D1010006 0001E506
	v_add_f32_e64 v7, v7, 1.0                                  // 00000000FA24: D1010007 0001E507
	v_rcp_f32_e32 v4, v4                                       // 00000000FA2C: 7E084504
	v_rcp_f32_e32 v5, v5                                       // 00000000FA30: 7E0A4505
	v_rcp_f32_e32 v6, v6                                       // 00000000FA34: 7E0C4506
	v_rcp_f32_e32 v7, v7                                       // 00000000FA38: 7E0E4507
	v_mul_f32_e32 v84, v84, v4                                 // 00000000FA3C: 0AA80954
	v_mul_f32_e32 v85, v85, v5                                 // 00000000FA40: 0AAA0B55
	v_mul_f32_e32 v86, v86, v6                                 // 00000000FA44: 0AAC0D56
	v_mul_f32_e32 v87, v87, v7                                 // 00000000FA48: 0AAE0F57
	v_mul_f32_e32 v84, v84, v148                               // 00000000FA4C: 0AA92954
	v_mul_f32_e32 v85, v85, v149                               // 00000000FA50: 0AAB2B55
	v_mul_f32_e32 v86, v86, v150                               // 00000000FA54: 0AAD2D56
	v_mul_f32_e32 v87, v87, v151                               // 00000000FA58: 0AAF2F57
	v_mul_f32_e64 v4, -v88, s6                                 // 00000000FA5C: D1050004 20000D58
	v_mul_f32_e64 v5, -v89, s6                                 // 00000000FA64: D1050005 20000D59
	v_mul_f32_e64 v6, -v90, s6                                 // 00000000FA6C: D1050006 20000D5A
	v_mul_f32_e64 v7, -v91, s6                                 // 00000000FA74: D1050007 20000D5B
	v_exp_f32_e32 v4, v4                                       // 00000000FA7C: 7E084104
	v_exp_f32_e32 v5, v5                                       // 00000000FA80: 7E0A4105
	v_exp_f32_e32 v6, v6                                       // 00000000FA84: 7E0C4106
	v_exp_f32_e32 v7, v7                                       // 00000000FA88: 7E0E4107
	v_add_f32_e64 v4, v4, 1.0                                  // 00000000FA8C: D1010004 0001E504
	v_add_f32_e64 v5, v5, 1.0                                  // 00000000FA94: D1010005 0001E505
	v_add_f32_e64 v6, v6, 1.0                                  // 00000000FA9C: D1010006 0001E506
	v_add_f32_e64 v7, v7, 1.0                                  // 00000000FAA4: D1010007 0001E507
	v_rcp_f32_e32 v4, v4                                       // 00000000FAAC: 7E084504
	v_rcp_f32_e32 v5, v5                                       // 00000000FAB0: 7E0A4505
	v_rcp_f32_e32 v6, v6                                       // 00000000FAB4: 7E0C4506
	v_rcp_f32_e32 v7, v7                                       // 00000000FAB8: 7E0E4507
	v_mul_f32_e32 v88, v88, v4                                 // 00000000FABC: 0AB00958
	v_mul_f32_e32 v89, v89, v5                                 // 00000000FAC0: 0AB20B59
	v_mul_f32_e32 v90, v90, v6                                 // 00000000FAC4: 0AB40D5A
	v_mul_f32_e32 v91, v91, v7                                 // 00000000FAC8: 0AB60F5B
	v_mul_f32_e32 v88, v88, v152                               // 00000000FACC: 0AB13158
	v_mul_f32_e32 v89, v89, v153                               // 00000000FAD0: 0AB33359
	v_mul_f32_e32 v90, v90, v154                               // 00000000FAD4: 0AB5355A
	v_mul_f32_e32 v91, v91, v155                               // 00000000FAD8: 0AB7375B
	v_mul_f32_e64 v4, -v92, s6                                 // 00000000FADC: D1050004 20000D5C
	v_mul_f32_e64 v5, -v93, s6                                 // 00000000FAE4: D1050005 20000D5D
	v_mul_f32_e64 v6, -v94, s6                                 // 00000000FAEC: D1050006 20000D5E
	v_mul_f32_e64 v7, -v95, s6                                 // 00000000FAF4: D1050007 20000D5F
	v_exp_f32_e32 v4, v4                                       // 00000000FAFC: 7E084104
	v_exp_f32_e32 v5, v5                                       // 00000000FB00: 7E0A4105
	v_exp_f32_e32 v6, v6                                       // 00000000FB04: 7E0C4106
	v_exp_f32_e32 v7, v7                                       // 00000000FB08: 7E0E4107
	v_add_f32_e64 v4, v4, 1.0                                  // 00000000FB0C: D1010004 0001E504
	v_add_f32_e64 v5, v5, 1.0                                  // 00000000FB14: D1010005 0001E505
	v_add_f32_e64 v6, v6, 1.0                                  // 00000000FB1C: D1010006 0001E506
	v_add_f32_e64 v7, v7, 1.0                                  // 00000000FB24: D1010007 0001E507
	v_rcp_f32_e32 v4, v4                                       // 00000000FB2C: 7E084504
	v_rcp_f32_e32 v5, v5                                       // 00000000FB30: 7E0A4505
	v_rcp_f32_e32 v6, v6                                       // 00000000FB34: 7E0C4506
	v_rcp_f32_e32 v7, v7                                       // 00000000FB38: 7E0E4507
	v_mul_f32_e32 v92, v92, v4                                 // 00000000FB3C: 0AB8095C
	v_mul_f32_e32 v93, v93, v5                                 // 00000000FB40: 0ABA0B5D
	v_mul_f32_e32 v94, v94, v6                                 // 00000000FB44: 0ABC0D5E
	v_mul_f32_e32 v95, v95, v7                                 // 00000000FB48: 0ABE0F5F
	v_mul_f32_e32 v92, v92, v156                               // 00000000FB4C: 0AB9395C
	v_mul_f32_e32 v93, v93, v157                               // 00000000FB50: 0ABB3B5D
	v_mul_f32_e32 v94, v94, v158                               // 00000000FB54: 0ABD3D5E
	v_mul_f32_e32 v95, v95, v159                               // 00000000FB58: 0ABF3F5F
	v_mul_f32_e64 v4, -v96, s6                                 // 00000000FB5C: D1050004 20000D60
	v_mul_f32_e64 v5, -v97, s6                                 // 00000000FB64: D1050005 20000D61
	v_mul_f32_e64 v6, -v98, s6                                 // 00000000FB6C: D1050006 20000D62
	v_mul_f32_e64 v7, -v99, s6                                 // 00000000FB74: D1050007 20000D63
	v_exp_f32_e32 v4, v4                                       // 00000000FB7C: 7E084104
	v_exp_f32_e32 v5, v5                                       // 00000000FB80: 7E0A4105
	v_exp_f32_e32 v6, v6                                       // 00000000FB84: 7E0C4106
	v_exp_f32_e32 v7, v7                                       // 00000000FB88: 7E0E4107
	v_add_f32_e64 v4, v4, 1.0                                  // 00000000FB8C: D1010004 0001E504
	v_add_f32_e64 v5, v5, 1.0                                  // 00000000FB94: D1010005 0001E505
	v_add_f32_e64 v6, v6, 1.0                                  // 00000000FB9C: D1010006 0001E506
	v_add_f32_e64 v7, v7, 1.0                                  // 00000000FBA4: D1010007 0001E507
	v_rcp_f32_e32 v4, v4                                       // 00000000FBAC: 7E084504
	v_rcp_f32_e32 v5, v5                                       // 00000000FBB0: 7E0A4505
	v_rcp_f32_e32 v6, v6                                       // 00000000FBB4: 7E0C4506
	v_rcp_f32_e32 v7, v7                                       // 00000000FBB8: 7E0E4507
	v_mul_f32_e32 v96, v96, v4                                 // 00000000FBBC: 0AC00960
	v_mul_f32_e32 v97, v97, v5                                 // 00000000FBC0: 0AC20B61
	v_mul_f32_e32 v98, v98, v6                                 // 00000000FBC4: 0AC40D62
	v_mul_f32_e32 v99, v99, v7                                 // 00000000FBC8: 0AC60F63
	v_mul_f32_e32 v96, v96, v160                               // 00000000FBCC: 0AC14160
	v_mul_f32_e32 v97, v97, v161                               // 00000000FBD0: 0AC34361
	v_mul_f32_e32 v98, v98, v162                               // 00000000FBD4: 0AC54562
	v_mul_f32_e32 v99, v99, v163                               // 00000000FBD8: 0AC74763
	v_mul_f32_e64 v4, -v100, s6                                // 00000000FBDC: D1050004 20000D64
	v_mul_f32_e64 v5, -v101, s6                                // 00000000FBE4: D1050005 20000D65
	v_mul_f32_e64 v6, -v102, s6                                // 00000000FBEC: D1050006 20000D66
	v_mul_f32_e64 v7, -v103, s6                                // 00000000FBF4: D1050007 20000D67
	v_exp_f32_e32 v4, v4                                       // 00000000FBFC: 7E084104
	v_exp_f32_e32 v5, v5                                       // 00000000FC00: 7E0A4105
	v_exp_f32_e32 v6, v6                                       // 00000000FC04: 7E0C4106
	v_exp_f32_e32 v7, v7                                       // 00000000FC08: 7E0E4107
	v_add_f32_e64 v4, v4, 1.0                                  // 00000000FC0C: D1010004 0001E504
	v_add_f32_e64 v5, v5, 1.0                                  // 00000000FC14: D1010005 0001E505
	v_add_f32_e64 v6, v6, 1.0                                  // 00000000FC1C: D1010006 0001E506
	v_add_f32_e64 v7, v7, 1.0                                  // 00000000FC24: D1010007 0001E507
	v_rcp_f32_e32 v4, v4                                       // 00000000FC2C: 7E084504
	v_rcp_f32_e32 v5, v5                                       // 00000000FC30: 7E0A4505
	v_rcp_f32_e32 v6, v6                                       // 00000000FC34: 7E0C4506
	v_rcp_f32_e32 v7, v7                                       // 00000000FC38: 7E0E4507
	v_mul_f32_e32 v100, v100, v4                               // 00000000FC3C: 0AC80964
	v_mul_f32_e32 v101, v101, v5                               // 00000000FC40: 0ACA0B65
	v_mul_f32_e32 v102, v102, v6                               // 00000000FC44: 0ACC0D66
	v_mul_f32_e32 v103, v103, v7                               // 00000000FC48: 0ACE0F67
	v_mul_f32_e32 v100, v100, v164                             // 00000000FC4C: 0AC94964
	v_mul_f32_e32 v101, v101, v165                             // 00000000FC50: 0ACB4B65
	v_mul_f32_e32 v102, v102, v166                             // 00000000FC54: 0ACD4D66
	v_mul_f32_e32 v103, v103, v167                             // 00000000FC58: 0ACF4F67
	v_mul_f32_e64 v4, -v104, s6                                // 00000000FC5C: D1050004 20000D68
	v_mul_f32_e64 v5, -v105, s6                                // 00000000FC64: D1050005 20000D69
	v_mul_f32_e64 v6, -v106, s6                                // 00000000FC6C: D1050006 20000D6A
	v_mul_f32_e64 v7, -v107, s6                                // 00000000FC74: D1050007 20000D6B
	v_exp_f32_e32 v4, v4                                       // 00000000FC7C: 7E084104
	v_exp_f32_e32 v5, v5                                       // 00000000FC80: 7E0A4105
	v_exp_f32_e32 v6, v6                                       // 00000000FC84: 7E0C4106
	v_exp_f32_e32 v7, v7                                       // 00000000FC88: 7E0E4107
	v_add_f32_e64 v4, v4, 1.0                                  // 00000000FC8C: D1010004 0001E504
	v_add_f32_e64 v5, v5, 1.0                                  // 00000000FC94: D1010005 0001E505
	v_add_f32_e64 v6, v6, 1.0                                  // 00000000FC9C: D1010006 0001E506
	v_add_f32_e64 v7, v7, 1.0                                  // 00000000FCA4: D1010007 0001E507
	v_rcp_f32_e32 v4, v4                                       // 00000000FCAC: 7E084504
	v_rcp_f32_e32 v5, v5                                       // 00000000FCB0: 7E0A4505
	v_rcp_f32_e32 v6, v6                                       // 00000000FCB4: 7E0C4506
	v_rcp_f32_e32 v7, v7                                       // 00000000FCB8: 7E0E4507
	v_mul_f32_e32 v104, v104, v4                               // 00000000FCBC: 0AD00968
	v_mul_f32_e32 v105, v105, v5                               // 00000000FCC0: 0AD20B69
	v_mul_f32_e32 v106, v106, v6                               // 00000000FCC4: 0AD40D6A
	v_mul_f32_e32 v107, v107, v7                               // 00000000FCC8: 0AD60F6B
	v_mul_f32_e32 v104, v104, v168                             // 00000000FCCC: 0AD15168
	v_mul_f32_e32 v105, v105, v169                             // 00000000FCD0: 0AD35369
	v_mul_f32_e32 v106, v106, v170                             // 00000000FCD4: 0AD5556A
	v_mul_f32_e32 v107, v107, v171                             // 00000000FCD8: 0AD7576B
	v_mul_f32_e64 v4, -v108, s6                                // 00000000FCDC: D1050004 20000D6C
	v_mul_f32_e64 v5, -v109, s6                                // 00000000FCE4: D1050005 20000D6D
	v_mul_f32_e64 v6, -v110, s6                                // 00000000FCEC: D1050006 20000D6E
	v_mul_f32_e64 v7, -v111, s6                                // 00000000FCF4: D1050007 20000D6F
	v_exp_f32_e32 v4, v4                                       // 00000000FCFC: 7E084104
	v_exp_f32_e32 v5, v5                                       // 00000000FD00: 7E0A4105
	v_exp_f32_e32 v6, v6                                       // 00000000FD04: 7E0C4106
	v_exp_f32_e32 v7, v7                                       // 00000000FD08: 7E0E4107
	v_add_f32_e64 v4, v4, 1.0                                  // 00000000FD0C: D1010004 0001E504
	v_add_f32_e64 v5, v5, 1.0                                  // 00000000FD14: D1010005 0001E505
	v_add_f32_e64 v6, v6, 1.0                                  // 00000000FD1C: D1010006 0001E506
	v_add_f32_e64 v7, v7, 1.0                                  // 00000000FD24: D1010007 0001E507
	v_rcp_f32_e32 v4, v4                                       // 00000000FD2C: 7E084504
	v_rcp_f32_e32 v5, v5                                       // 00000000FD30: 7E0A4505
	v_rcp_f32_e32 v6, v6                                       // 00000000FD34: 7E0C4506
	v_rcp_f32_e32 v7, v7                                       // 00000000FD38: 7E0E4507
	v_mul_f32_e32 v108, v108, v4                               // 00000000FD3C: 0AD8096C
	v_mul_f32_e32 v109, v109, v5                               // 00000000FD40: 0ADA0B6D
	v_mul_f32_e32 v110, v110, v6                               // 00000000FD44: 0ADC0D6E
	v_mul_f32_e32 v111, v111, v7                               // 00000000FD48: 0ADE0F6F
	v_mul_f32_e32 v108, v108, v172                             // 00000000FD4C: 0AD9596C
	v_mul_f32_e32 v109, v109, v173                             // 00000000FD50: 0ADB5B6D
	v_mul_f32_e32 v110, v110, v174                             // 00000000FD54: 0ADD5D6E
	v_mul_f32_e32 v111, v111, v175                             // 00000000FD58: 0ADF5F6F
	v_mul_f32_e64 v4, -v112, s6                                // 00000000FD5C: D1050004 20000D70
	v_mul_f32_e64 v5, -v113, s6                                // 00000000FD64: D1050005 20000D71
	v_mul_f32_e64 v6, -v114, s6                                // 00000000FD6C: D1050006 20000D72
	v_mul_f32_e64 v7, -v115, s6                                // 00000000FD74: D1050007 20000D73
	v_exp_f32_e32 v4, v4                                       // 00000000FD7C: 7E084104
	v_exp_f32_e32 v5, v5                                       // 00000000FD80: 7E0A4105
	v_exp_f32_e32 v6, v6                                       // 00000000FD84: 7E0C4106
	v_exp_f32_e32 v7, v7                                       // 00000000FD88: 7E0E4107
	v_add_f32_e64 v4, v4, 1.0                                  // 00000000FD8C: D1010004 0001E504
	v_add_f32_e64 v5, v5, 1.0                                  // 00000000FD94: D1010005 0001E505
	v_add_f32_e64 v6, v6, 1.0                                  // 00000000FD9C: D1010006 0001E506
	v_add_f32_e64 v7, v7, 1.0                                  // 00000000FDA4: D1010007 0001E507
	v_rcp_f32_e32 v4, v4                                       // 00000000FDAC: 7E084504
	v_rcp_f32_e32 v5, v5                                       // 00000000FDB0: 7E0A4505
	v_rcp_f32_e32 v6, v6                                       // 00000000FDB4: 7E0C4506
	v_rcp_f32_e32 v7, v7                                       // 00000000FDB8: 7E0E4507
	v_mul_f32_e32 v112, v112, v4                               // 00000000FDBC: 0AE00970
	v_mul_f32_e32 v113, v113, v5                               // 00000000FDC0: 0AE20B71
	v_mul_f32_e32 v114, v114, v6                               // 00000000FDC4: 0AE40D72
	v_mul_f32_e32 v115, v115, v7                               // 00000000FDC8: 0AE60F73
	v_mul_f32_e32 v112, v112, v176                             // 00000000FDCC: 0AE16170
	v_mul_f32_e32 v113, v113, v177                             // 00000000FDD0: 0AE36371
	v_mul_f32_e32 v114, v114, v178                             // 00000000FDD4: 0AE56572
	v_mul_f32_e32 v115, v115, v179                             // 00000000FDD8: 0AE76773
	v_mul_f32_e64 v4, -v116, s6                                // 00000000FDDC: D1050004 20000D74
	v_mul_f32_e64 v5, -v117, s6                                // 00000000FDE4: D1050005 20000D75
	v_mul_f32_e64 v6, -v118, s6                                // 00000000FDEC: D1050006 20000D76
	v_mul_f32_e64 v7, -v119, s6                                // 00000000FDF4: D1050007 20000D77
	v_exp_f32_e32 v4, v4                                       // 00000000FDFC: 7E084104
	v_exp_f32_e32 v5, v5                                       // 00000000FE00: 7E0A4105
	v_exp_f32_e32 v6, v6                                       // 00000000FE04: 7E0C4106
	v_exp_f32_e32 v7, v7                                       // 00000000FE08: 7E0E4107
	v_add_f32_e64 v4, v4, 1.0                                  // 00000000FE0C: D1010004 0001E504
	v_add_f32_e64 v5, v5, 1.0                                  // 00000000FE14: D1010005 0001E505
	v_add_f32_e64 v6, v6, 1.0                                  // 00000000FE1C: D1010006 0001E506
	v_add_f32_e64 v7, v7, 1.0                                  // 00000000FE24: D1010007 0001E507
	v_rcp_f32_e32 v4, v4                                       // 00000000FE2C: 7E084504
	v_rcp_f32_e32 v5, v5                                       // 00000000FE30: 7E0A4505
	v_rcp_f32_e32 v6, v6                                       // 00000000FE34: 7E0C4506
	v_rcp_f32_e32 v7, v7                                       // 00000000FE38: 7E0E4507
	v_mul_f32_e32 v116, v116, v4                               // 00000000FE3C: 0AE80974
	v_mul_f32_e32 v117, v117, v5                               // 00000000FE40: 0AEA0B75
	v_mul_f32_e32 v118, v118, v6                               // 00000000FE44: 0AEC0D76
	v_mul_f32_e32 v119, v119, v7                               // 00000000FE48: 0AEE0F77
	v_mul_f32_e32 v116, v116, v180                             // 00000000FE4C: 0AE96974
	v_mul_f32_e32 v117, v117, v181                             // 00000000FE50: 0AEB6B75
	v_mul_f32_e32 v118, v118, v182                             // 00000000FE54: 0AED6D76
	v_mul_f32_e32 v119, v119, v183                             // 00000000FE58: 0AEF6F77
	v_mul_f32_e64 v4, -v120, s6                                // 00000000FE5C: D1050004 20000D78
	v_mul_f32_e64 v5, -v121, s6                                // 00000000FE64: D1050005 20000D79
	v_mul_f32_e64 v6, -v122, s6                                // 00000000FE6C: D1050006 20000D7A
	v_mul_f32_e64 v7, -v123, s6                                // 00000000FE74: D1050007 20000D7B
	v_exp_f32_e32 v4, v4                                       // 00000000FE7C: 7E084104
	v_exp_f32_e32 v5, v5                                       // 00000000FE80: 7E0A4105
	v_exp_f32_e32 v6, v6                                       // 00000000FE84: 7E0C4106
	v_exp_f32_e32 v7, v7                                       // 00000000FE88: 7E0E4107
	v_add_f32_e64 v4, v4, 1.0                                  // 00000000FE8C: D1010004 0001E504
	v_add_f32_e64 v5, v5, 1.0                                  // 00000000FE94: D1010005 0001E505
	v_add_f32_e64 v6, v6, 1.0                                  // 00000000FE9C: D1010006 0001E506
	v_add_f32_e64 v7, v7, 1.0                                  // 00000000FEA4: D1010007 0001E507
	v_rcp_f32_e32 v4, v4                                       // 00000000FEAC: 7E084504
	v_rcp_f32_e32 v5, v5                                       // 00000000FEB0: 7E0A4505
	v_rcp_f32_e32 v6, v6                                       // 00000000FEB4: 7E0C4506
	v_rcp_f32_e32 v7, v7                                       // 00000000FEB8: 7E0E4507
	v_mul_f32_e32 v120, v120, v4                               // 00000000FEBC: 0AF00978
	v_mul_f32_e32 v121, v121, v5                               // 00000000FEC0: 0AF20B79
	v_mul_f32_e32 v122, v122, v6                               // 00000000FEC4: 0AF40D7A
	v_mul_f32_e32 v123, v123, v7                               // 00000000FEC8: 0AF60F7B
	v_mul_f32_e32 v120, v120, v184                             // 00000000FECC: 0AF17178
	v_mul_f32_e32 v121, v121, v185                             // 00000000FED0: 0AF37379
	v_mul_f32_e32 v122, v122, v186                             // 00000000FED4: 0AF5757A
	v_mul_f32_e32 v123, v123, v187                             // 00000000FED8: 0AF7777B

000000000000fedc <label_353A>:
	s_cmp_eq_u32 s7, 0                                         // 00000000FEDC: BF068007
	s_cbranch_scc0 label_354A                                  // 00000000FEE0: BF84000E
	v_and_b32_e32 v4, 15, v0                                   // 00000000FEE4: 2608008F
	v_lshlrev_b32_e32 v4, 2, v4                                // 00000000FEE8: 24080882
	buffer_load_dword v30, v4, s[12:15], 0 offen               // 00000000FEEC: E0501000 80031E04
	v_add_u32_e32 v4, 64, v4                                   // 00000000FEF4: 680808C0
	buffer_load_dword v31, v4, s[12:15], 0 offen               // 00000000FEF8: E0501000 80031F04
	v_add_u32_e32 v4, 64, v4                                   // 00000000FF00: 680808C0
	buffer_load_dword v32, v4, s[12:15], 0 offen               // 00000000FF04: E0501000 80032004
	v_add_u32_e32 v4, 64, v4                                   // 00000000FF0C: 680808C0
	buffer_load_dword v33, v4, s[12:15], 0 offen               // 00000000FF10: E0501000 80032104
	v_add_u32_e32 v4, 64, v4                                   // 00000000FF18: 680808C0

000000000000ff1c <label_354A>:
	v_lshlrev_b32_e32 v4, 2, v0                                // 00000000FF1C: 24080082
	s_mul_i32 s60, 0x100, s7                                   // 00000000FF20: 923C07FF 00000100
	v_add_u32_e32 v132, s60, v4                                // 00000000FF28: 6908083C
	v_and_b32_e32 v4, 15, v0                                   // 00000000FF2C: 2608008F
	v_lshlrev_b32_e32 v133, 2, v4                              // 00000000FF30: 250A0882
	s_waitcnt lgkmcnt(0)                                       // 00000000FF34: BF8CC07F
	s_barrier                                                  // 00000000FF38: BF8A0000
	v_mov_b32_e32 v124, 0x358637bd                             // 00000000FF3C: 7EF802FF 358637BD
	v_max3_f32 v124, |v60|, |v61|, v124                        // 00000000FF44: D1D3037C 05F27B3C
	v_max3_f32 v124, |v62|, |v63|, v124                        // 00000000FF4C: D1D3037C 05F27F3E
	v_max3_f32 v124, |v76|, |v77|, v124                        // 00000000FF54: D1D3037C 05F29B4C
	v_max3_f32 v124, |v78|, |v79|, v124                        // 00000000FF5C: D1D3037C 05F29F4E
	ds_write_b32 v132, v124                                    // 00000000FF64: D81A0000 00007C84
	s_waitcnt lgkmcnt(0)                                       // 00000000FF6C: BF8CC07F
	s_barrier                                                  // 00000000FF70: BF8A0000
	ds_read_b32 v4, v133                                       // 00000000FF74: D86C0000 04000085
	ds_read_b32 v5, v133 offset:64                             // 00000000FF7C: D86C0040 05000085
	ds_read_b32 v6, v133 offset:128                            // 00000000FF84: D86C0080 06000085
	ds_read_b32 v7, v133 offset:192                            // 00000000FF8C: D86C00C0 07000085
	ds_read_b32 v8, v133 offset:256                            // 00000000FF94: D86C0100 08000085
	ds_read_b32 v9, v133 offset:320                            // 00000000FF9C: D86C0140 09000085
	ds_read_b32 v10, v133 offset:384                           // 00000000FFA4: D86C0180 0A000085
	ds_read_b32 v11, v133 offset:448                           // 00000000FFAC: D86C01C0 0B000085
	ds_read_b32 v12, v133 offset:512                           // 00000000FFB4: D86C0200 0C000085
	ds_read_b32 v13, v133 offset:576                           // 00000000FFBC: D86C0240 0D000085
	ds_read_b32 v14, v133 offset:640                           // 00000000FFC4: D86C0280 0E000085
	ds_read_b32 v15, v133 offset:704                           // 00000000FFCC: D86C02C0 0F000085
	ds_read_b32 v16, v133 offset:768                           // 00000000FFD4: D86C0300 10000085
	ds_read_b32 v17, v133 offset:832                           // 00000000FFDC: D86C0340 11000085
	ds_read_b32 v18, v133 offset:896                           // 00000000FFE4: D86C0380 12000085
	ds_read_b32 v19, v133 offset:960                           // 00000000FFEC: D86C03C0 13000085
	s_waitcnt lgkmcnt(0)                                       // 00000000FFF4: BF8CC07F
	s_barrier                                                  // 00000000FFF8: BF8A0000
	v_max3_f32 v124, |v4|, |v5|, v124                          // 00000000FFFC: D1D3037C 05F20B04
	v_max3_f32 v124, |v6|, |v7|, v124                          // 000000010004: D1D3037C 05F20F06
	v_max3_f32 v124, |v8|, |v9|, v124                          // 00000001000C: D1D3037C 05F21308
	v_max3_f32 v124, |v10|, |v11|, v124                        // 000000010014: D1D3037C 05F2170A
	v_max3_f32 v124, |v12|, |v13|, v124                        // 00000001001C: D1D3037C 05F21B0C
	v_max3_f32 v124, |v14|, |v15|, v124                        // 000000010024: D1D3037C 05F21F0E
	v_max3_f32 v124, |v16|, |v17|, v124                        // 00000001002C: D1D3037C 05F22310
	v_max3_f32 v124, |v18|, |v19|, v124                        // 000000010034: D1D3037C 05F22712
	v_rcp_f32_e32 v124, v124                                   // 00000001003C: 7EF8457C
	v_mov_b32_e32 v4, 0x43700000                               // 000000010040: 7E0802FF 43700000
	v_mul_f32_e32 v124, v4, v124                               // 000000010048: 0AF8F904
	v_mov_b32_e32 v4, v124                                     // 00000001004C: 7E08037C
	v_mov_b32_e32 v5, v4                                       // 000000010050: 7E0A0304
	v_pk_mul_f32 v[60:61], v[4:5], v[60:61]                    // 000000010054: D3B1403C 18027904
	v_pk_mul_f32 v[62:63], v[4:5], v[62:63]                    // 00000001005C: D3B1403E 18027D04
	v_cvt_pk_fp8_f32 v60, v60, v61                             // 000000010064: D2A2003C 00027B3C
	v_cvt_pk_fp8_f32 v60, v62, v63 op_sel:[0,0,1]              // 00000001006C: D2A2403C 00027F3E
	v_pk_mul_f32 v[76:77], v[4:5], v[76:77]                    // 000000010074: D3B1404C 18029904
	v_pk_mul_f32 v[78:79], v[4:5], v[78:79]                    // 00000001007C: D3B1404E 18029D04
	v_cvt_pk_fp8_f32 v76, v76, v77                             // 000000010084: D2A2004C 00029B4C
	v_cvt_pk_fp8_f32 v76, v78, v79 op_sel:[0,0,1]              // 00000001008C: D2A2404C 00029F4E
	v_rcp_f32_e32 v124, v124                                   // 000000010094: 7EF8457C
	v_mov_b32_e32 v128, 0x358637bd                             // 000000010098: 7F0002FF 358637BD
	v_max3_f32 v128, |v92|, |v93|, v128                        // 0000000100A0: D1D30380 0602BB5C
	v_max3_f32 v128, |v94|, |v95|, v128                        // 0000000100A8: D1D30380 0602BF5E
	v_max3_f32 v128, |v108|, |v109|, v128                      // 0000000100B0: D1D30380 0602DB6C
	v_max3_f32 v128, |v110|, |v111|, v128                      // 0000000100B8: D1D30380 0602DF6E
	ds_write_b32 v132, v128                                    // 0000000100C0: D81A0000 00008084
	s_waitcnt lgkmcnt(0)                                       // 0000000100C8: BF8CC07F
	s_barrier                                                  // 0000000100CC: BF8A0000
	ds_read_b32 v4, v133                                       // 0000000100D0: D86C0000 04000085
	ds_read_b32 v5, v133 offset:64                             // 0000000100D8: D86C0040 05000085
	ds_read_b32 v6, v133 offset:128                            // 0000000100E0: D86C0080 06000085
	ds_read_b32 v7, v133 offset:192                            // 0000000100E8: D86C00C0 07000085
	ds_read_b32 v8, v133 offset:256                            // 0000000100F0: D86C0100 08000085
	ds_read_b32 v9, v133 offset:320                            // 0000000100F8: D86C0140 09000085
	ds_read_b32 v10, v133 offset:384                           // 000000010100: D86C0180 0A000085
	ds_read_b32 v11, v133 offset:448                           // 000000010108: D86C01C0 0B000085
	ds_read_b32 v12, v133 offset:512                           // 000000010110: D86C0200 0C000085
	ds_read_b32 v13, v133 offset:576                           // 000000010118: D86C0240 0D000085
	ds_read_b32 v14, v133 offset:640                           // 000000010120: D86C0280 0E000085
	ds_read_b32 v15, v133 offset:704                           // 000000010128: D86C02C0 0F000085
	ds_read_b32 v16, v133 offset:768                           // 000000010130: D86C0300 10000085
	ds_read_b32 v17, v133 offset:832                           // 000000010138: D86C0340 11000085
	ds_read_b32 v18, v133 offset:896                           // 000000010140: D86C0380 12000085
	ds_read_b32 v19, v133 offset:960                           // 000000010148: D86C03C0 13000085
	s_waitcnt lgkmcnt(0)                                       // 000000010150: BF8CC07F
	s_barrier                                                  // 000000010154: BF8A0000
	v_max3_f32 v128, |v4|, |v5|, v128                          // 000000010158: D1D30380 06020B04
	v_max3_f32 v128, |v6|, |v7|, v128                          // 000000010160: D1D30380 06020F06
	v_max3_f32 v128, |v8|, |v9|, v128                          // 000000010168: D1D30380 06021308
	v_max3_f32 v128, |v10|, |v11|, v128                        // 000000010170: D1D30380 0602170A
	v_max3_f32 v128, |v12|, |v13|, v128                        // 000000010178: D1D30380 06021B0C
	v_max3_f32 v128, |v14|, |v15|, v128                        // 000000010180: D1D30380 06021F0E
	v_max3_f32 v128, |v16|, |v17|, v128                        // 000000010188: D1D30380 06022310
	v_max3_f32 v128, |v18|, |v19|, v128                        // 000000010190: D1D30380 06022712
	v_rcp_f32_e32 v128, v128                                   // 000000010198: 7F004580
	v_mov_b32_e32 v4, 0x43700000                               // 00000001019C: 7E0802FF 43700000
	v_mul_f32_e32 v128, v4, v128                               // 0000000101A4: 0B010104
	v_mov_b32_e32 v4, v128                                     // 0000000101A8: 7E080380
	v_mov_b32_e32 v5, v4                                       // 0000000101AC: 7E0A0304
	v_pk_mul_f32 v[92:93], v[4:5], v[92:93]                    // 0000000101B0: D3B1405C 1802B904
	v_pk_mul_f32 v[94:95], v[4:5], v[94:95]                    // 0000000101B8: D3B1405E 1802BD04
	v_cvt_pk_fp8_f32 v92, v92, v93                             // 0000000101C0: D2A2005C 0002BB5C
	v_cvt_pk_fp8_f32 v92, v94, v95 op_sel:[0,0,1]              // 0000000101C8: D2A2405C 0002BF5E
	v_pk_mul_f32 v[108:109], v[4:5], v[108:109]                // 0000000101D0: D3B1406C 1802D904
	v_pk_mul_f32 v[110:111], v[4:5], v[110:111]                // 0000000101D8: D3B1406E 1802DD04
	v_cvt_pk_fp8_f32 v108, v108, v109                          // 0000000101E0: D2A2006C 0002DB6C
	v_cvt_pk_fp8_f32 v108, v110, v111 op_sel:[0,0,1]           // 0000000101E8: D2A2406C 0002DF6E
	v_rcp_f32_e32 v128, v128                                   // 0000000101F0: 7F004580
	v_mov_b32_e32 v125, 0x358637bd                             // 0000000101F4: 7EFA02FF 358637BD
	v_max3_f32 v125, |v64|, |v65|, v125                        // 0000000101FC: D1D3037D 05F68340
	v_max3_f32 v125, |v66|, |v67|, v125                        // 000000010204: D1D3037D 05F68742
	v_max3_f32 v125, |v80|, |v81|, v125                        // 00000001020C: D1D3037D 05F6A350
	v_max3_f32 v125, |v82|, |v83|, v125                        // 000000010214: D1D3037D 05F6A752
	ds_write_b32 v132, v125                                    // 00000001021C: D81A0000 00007D84
	s_waitcnt lgkmcnt(0)                                       // 000000010224: BF8CC07F
	s_barrier                                                  // 000000010228: BF8A0000
	ds_read_b32 v4, v133                                       // 00000001022C: D86C0000 04000085
	ds_read_b32 v5, v133 offset:64                             // 000000010234: D86C0040 05000085
	ds_read_b32 v6, v133 offset:128                            // 00000001023C: D86C0080 06000085
	ds_read_b32 v7, v133 offset:192                            // 000000010244: D86C00C0 07000085
	ds_read_b32 v8, v133 offset:256                            // 00000001024C: D86C0100 08000085
	ds_read_b32 v9, v133 offset:320                            // 000000010254: D86C0140 09000085
	ds_read_b32 v10, v133 offset:384                           // 00000001025C: D86C0180 0A000085
	ds_read_b32 v11, v133 offset:448                           // 000000010264: D86C01C0 0B000085
	ds_read_b32 v12, v133 offset:512                           // 00000001026C: D86C0200 0C000085
	ds_read_b32 v13, v133 offset:576                           // 000000010274: D86C0240 0D000085
	ds_read_b32 v14, v133 offset:640                           // 00000001027C: D86C0280 0E000085
	ds_read_b32 v15, v133 offset:704                           // 000000010284: D86C02C0 0F000085
	ds_read_b32 v16, v133 offset:768                           // 00000001028C: D86C0300 10000085
	ds_read_b32 v17, v133 offset:832                           // 000000010294: D86C0340 11000085
	ds_read_b32 v18, v133 offset:896                           // 00000001029C: D86C0380 12000085
	ds_read_b32 v19, v133 offset:960                           // 0000000102A4: D86C03C0 13000085
	s_waitcnt lgkmcnt(0)                                       // 0000000102AC: BF8CC07F
	s_barrier                                                  // 0000000102B0: BF8A0000
	v_max3_f32 v125, |v4|, |v5|, v125                          // 0000000102B4: D1D3037D 05F60B04
	v_max3_f32 v125, |v6|, |v7|, v125                          // 0000000102BC: D1D3037D 05F60F06
	v_max3_f32 v125, |v8|, |v9|, v125                          // 0000000102C4: D1D3037D 05F61308
	v_max3_f32 v125, |v10|, |v11|, v125                        // 0000000102CC: D1D3037D 05F6170A
	v_max3_f32 v125, |v12|, |v13|, v125                        // 0000000102D4: D1D3037D 05F61B0C
	v_max3_f32 v125, |v14|, |v15|, v125                        // 0000000102DC: D1D3037D 05F61F0E
	v_max3_f32 v125, |v16|, |v17|, v125                        // 0000000102E4: D1D3037D 05F62310
	v_max3_f32 v125, |v18|, |v19|, v125                        // 0000000102EC: D1D3037D 05F62712
	v_rcp_f32_e32 v125, v125                                   // 0000000102F4: 7EFA457D
	v_mov_b32_e32 v4, 0x43700000                               // 0000000102F8: 7E0802FF 43700000
	v_mul_f32_e32 v125, v4, v125                               // 000000010300: 0AFAFB04
	v_mov_b32_e32 v4, v125                                     // 000000010304: 7E08037D
	v_mov_b32_e32 v5, v4                                       // 000000010308: 7E0A0304
	v_pk_mul_f32 v[64:65], v[4:5], v[64:65]                    // 00000001030C: D3B14040 18028104
	v_pk_mul_f32 v[66:67], v[4:5], v[66:67]                    // 000000010314: D3B14042 18028504
	v_cvt_pk_fp8_f32 v64, v64, v65                             // 00000001031C: D2A20040 00028340
	v_cvt_pk_fp8_f32 v64, v66, v67 op_sel:[0,0,1]              // 000000010324: D2A24040 00028742
	v_pk_mul_f32 v[80:81], v[4:5], v[80:81]                    // 00000001032C: D3B14050 1802A104
	v_pk_mul_f32 v[82:83], v[4:5], v[82:83]                    // 000000010334: D3B14052 1802A504
	v_cvt_pk_fp8_f32 v80, v80, v81                             // 00000001033C: D2A20050 0002A350
	v_cvt_pk_fp8_f32 v80, v82, v83 op_sel:[0,0,1]              // 000000010344: D2A24050 0002A752
	v_rcp_f32_e32 v125, v125                                   // 00000001034C: 7EFA457D
	v_mov_b32_e32 v129, 0x358637bd                             // 000000010350: 7F0202FF 358637BD
	v_max3_f32 v129, |v96|, |v97|, v129                        // 000000010358: D1D30381 0606C360
	v_max3_f32 v129, |v98|, |v99|, v129                        // 000000010360: D1D30381 0606C762
	v_max3_f32 v129, |v112|, |v113|, v129                      // 000000010368: D1D30381 0606E370
	v_max3_f32 v129, |v114|, |v115|, v129                      // 000000010370: D1D30381 0606E772
	ds_write_b32 v132, v129                                    // 000000010378: D81A0000 00008184
	s_waitcnt lgkmcnt(0)                                       // 000000010380: BF8CC07F
	s_barrier                                                  // 000000010384: BF8A0000
	ds_read_b32 v4, v133                                       // 000000010388: D86C0000 04000085
	ds_read_b32 v5, v133 offset:64                             // 000000010390: D86C0040 05000085
	ds_read_b32 v6, v133 offset:128                            // 000000010398: D86C0080 06000085
	ds_read_b32 v7, v133 offset:192                            // 0000000103A0: D86C00C0 07000085
	ds_read_b32 v8, v133 offset:256                            // 0000000103A8: D86C0100 08000085
	ds_read_b32 v9, v133 offset:320                            // 0000000103B0: D86C0140 09000085
	ds_read_b32 v10, v133 offset:384                           // 0000000103B8: D86C0180 0A000085
	ds_read_b32 v11, v133 offset:448                           // 0000000103C0: D86C01C0 0B000085
	ds_read_b32 v12, v133 offset:512                           // 0000000103C8: D86C0200 0C000085
	ds_read_b32 v13, v133 offset:576                           // 0000000103D0: D86C0240 0D000085
	ds_read_b32 v14, v133 offset:640                           // 0000000103D8: D86C0280 0E000085
	ds_read_b32 v15, v133 offset:704                           // 0000000103E0: D86C02C0 0F000085
	ds_read_b32 v16, v133 offset:768                           // 0000000103E8: D86C0300 10000085
	ds_read_b32 v17, v133 offset:832                           // 0000000103F0: D86C0340 11000085
	ds_read_b32 v18, v133 offset:896                           // 0000000103F8: D86C0380 12000085
	ds_read_b32 v19, v133 offset:960                           // 000000010400: D86C03C0 13000085
	s_waitcnt lgkmcnt(0)                                       // 000000010408: BF8CC07F
	s_barrier                                                  // 00000001040C: BF8A0000
	v_max3_f32 v129, |v4|, |v5|, v129                          // 000000010410: D1D30381 06060B04
	v_max3_f32 v129, |v6|, |v7|, v129                          // 000000010418: D1D30381 06060F06
	v_max3_f32 v129, |v8|, |v9|, v129                          // 000000010420: D1D30381 06061308
	v_max3_f32 v129, |v10|, |v11|, v129                        // 000000010428: D1D30381 0606170A
	v_max3_f32 v129, |v12|, |v13|, v129                        // 000000010430: D1D30381 06061B0C
	v_max3_f32 v129, |v14|, |v15|, v129                        // 000000010438: D1D30381 06061F0E
	v_max3_f32 v129, |v16|, |v17|, v129                        // 000000010440: D1D30381 06062310
	v_max3_f32 v129, |v18|, |v19|, v129                        // 000000010448: D1D30381 06062712
	v_rcp_f32_e32 v129, v129                                   // 000000010450: 7F024581
	v_mov_b32_e32 v4, 0x43700000                               // 000000010454: 7E0802FF 43700000
	v_mul_f32_e32 v129, v4, v129                               // 00000001045C: 0B030304
	v_mov_b32_e32 v4, v129                                     // 000000010460: 7E080381
	v_mov_b32_e32 v5, v4                                       // 000000010464: 7E0A0304
	v_pk_mul_f32 v[96:97], v[4:5], v[96:97]                    // 000000010468: D3B14060 1802C104
	v_pk_mul_f32 v[98:99], v[4:5], v[98:99]                    // 000000010470: D3B14062 1802C504
	v_cvt_pk_fp8_f32 v96, v96, v97                             // 000000010478: D2A20060 0002C360
	v_cvt_pk_fp8_f32 v96, v98, v99 op_sel:[0,0,1]              // 000000010480: D2A24060 0002C762
	v_pk_mul_f32 v[112:113], v[4:5], v[112:113]                // 000000010488: D3B14070 1802E104
	v_pk_mul_f32 v[114:115], v[4:5], v[114:115]                // 000000010490: D3B14072 1802E504
	v_cvt_pk_fp8_f32 v112, v112, v113                          // 000000010498: D2A20070 0002E370
	v_cvt_pk_fp8_f32 v112, v114, v115 op_sel:[0,0,1]           // 0000000104A0: D2A24070 0002E772
	v_rcp_f32_e32 v129, v129                                   // 0000000104A8: 7F024581
	v_mov_b32_e32 v126, 0x358637bd                             // 0000000104AC: 7EFC02FF 358637BD
	v_max3_f32 v126, |v68|, |v69|, v126                        // 0000000104B4: D1D3037E 05FA8B44
	v_max3_f32 v126, |v70|, |v71|, v126                        // 0000000104BC: D1D3037E 05FA8F46
	v_max3_f32 v126, |v84|, |v85|, v126                        // 0000000104C4: D1D3037E 05FAAB54
	v_max3_f32 v126, |v86|, |v87|, v126                        // 0000000104CC: D1D3037E 05FAAF56
	ds_write_b32 v132, v126                                    // 0000000104D4: D81A0000 00007E84
	s_waitcnt lgkmcnt(0)                                       // 0000000104DC: BF8CC07F
	s_barrier                                                  // 0000000104E0: BF8A0000
	ds_read_b32 v4, v133                                       // 0000000104E4: D86C0000 04000085
	ds_read_b32 v5, v133 offset:64                             // 0000000104EC: D86C0040 05000085
	ds_read_b32 v6, v133 offset:128                            // 0000000104F4: D86C0080 06000085
	ds_read_b32 v7, v133 offset:192                            // 0000000104FC: D86C00C0 07000085
	ds_read_b32 v8, v133 offset:256                            // 000000010504: D86C0100 08000085
	ds_read_b32 v9, v133 offset:320                            // 00000001050C: D86C0140 09000085
	ds_read_b32 v10, v133 offset:384                           // 000000010514: D86C0180 0A000085
	ds_read_b32 v11, v133 offset:448                           // 00000001051C: D86C01C0 0B000085
	ds_read_b32 v12, v133 offset:512                           // 000000010524: D86C0200 0C000085
	ds_read_b32 v13, v133 offset:576                           // 00000001052C: D86C0240 0D000085
	ds_read_b32 v14, v133 offset:640                           // 000000010534: D86C0280 0E000085
	ds_read_b32 v15, v133 offset:704                           // 00000001053C: D86C02C0 0F000085
	ds_read_b32 v16, v133 offset:768                           // 000000010544: D86C0300 10000085
	ds_read_b32 v17, v133 offset:832                           // 00000001054C: D86C0340 11000085
	ds_read_b32 v18, v133 offset:896                           // 000000010554: D86C0380 12000085
	ds_read_b32 v19, v133 offset:960                           // 00000001055C: D86C03C0 13000085
	s_waitcnt lgkmcnt(0)                                       // 000000010564: BF8CC07F
	s_barrier                                                  // 000000010568: BF8A0000
	v_max3_f32 v126, |v4|, |v5|, v126                          // 00000001056C: D1D3037E 05FA0B04
	v_max3_f32 v126, |v6|, |v7|, v126                          // 000000010574: D1D3037E 05FA0F06
	v_max3_f32 v126, |v8|, |v9|, v126                          // 00000001057C: D1D3037E 05FA1308
	v_max3_f32 v126, |v10|, |v11|, v126                        // 000000010584: D1D3037E 05FA170A
	v_max3_f32 v126, |v12|, |v13|, v126                        // 00000001058C: D1D3037E 05FA1B0C
	v_max3_f32 v126, |v14|, |v15|, v126                        // 000000010594: D1D3037E 05FA1F0E
	v_max3_f32 v126, |v16|, |v17|, v126                        // 00000001059C: D1D3037E 05FA2310
	v_max3_f32 v126, |v18|, |v19|, v126                        // 0000000105A4: D1D3037E 05FA2712
	v_rcp_f32_e32 v126, v126                                   // 0000000105AC: 7EFC457E
	v_mov_b32_e32 v4, 0x43700000                               // 0000000105B0: 7E0802FF 43700000
	v_mul_f32_e32 v126, v4, v126                               // 0000000105B8: 0AFCFD04
	v_mov_b32_e32 v4, v126                                     // 0000000105BC: 7E08037E
	v_mov_b32_e32 v5, v4                                       // 0000000105C0: 7E0A0304
	v_pk_mul_f32 v[68:69], v[4:5], v[68:69]                    // 0000000105C4: D3B14044 18028904
	v_pk_mul_f32 v[70:71], v[4:5], v[70:71]                    // 0000000105CC: D3B14046 18028D04
	v_cvt_pk_fp8_f32 v68, v68, v69                             // 0000000105D4: D2A20044 00028B44
	v_cvt_pk_fp8_f32 v68, v70, v71 op_sel:[0,0,1]              // 0000000105DC: D2A24044 00028F46
	v_pk_mul_f32 v[84:85], v[4:5], v[84:85]                    // 0000000105E4: D3B14054 1802A904
	v_pk_mul_f32 v[86:87], v[4:5], v[86:87]                    // 0000000105EC: D3B14056 1802AD04
	v_cvt_pk_fp8_f32 v84, v84, v85                             // 0000000105F4: D2A20054 0002AB54
	v_cvt_pk_fp8_f32 v84, v86, v87 op_sel:[0,0,1]              // 0000000105FC: D2A24054 0002AF56
	v_rcp_f32_e32 v126, v126                                   // 000000010604: 7EFC457E
	v_mov_b32_e32 v130, 0x358637bd                             // 000000010608: 7F0402FF 358637BD
	v_max3_f32 v130, |v100|, |v101|, v130                      // 000000010610: D1D30382 060ACB64
	v_max3_f32 v130, |v102|, |v103|, v130                      // 000000010618: D1D30382 060ACF66
	v_max3_f32 v130, |v116|, |v117|, v130                      // 000000010620: D1D30382 060AEB74
	v_max3_f32 v130, |v118|, |v119|, v130                      // 000000010628: D1D30382 060AEF76
	ds_write_b32 v132, v130                                    // 000000010630: D81A0000 00008284
	s_waitcnt lgkmcnt(0)                                       // 000000010638: BF8CC07F
	s_barrier                                                  // 00000001063C: BF8A0000
	ds_read_b32 v4, v133                                       // 000000010640: D86C0000 04000085
	ds_read_b32 v5, v133 offset:64                             // 000000010648: D86C0040 05000085
	ds_read_b32 v6, v133 offset:128                            // 000000010650: D86C0080 06000085
	ds_read_b32 v7, v133 offset:192                            // 000000010658: D86C00C0 07000085
	ds_read_b32 v8, v133 offset:256                            // 000000010660: D86C0100 08000085
	ds_read_b32 v9, v133 offset:320                            // 000000010668: D86C0140 09000085
	ds_read_b32 v10, v133 offset:384                           // 000000010670: D86C0180 0A000085
	ds_read_b32 v11, v133 offset:448                           // 000000010678: D86C01C0 0B000085
	ds_read_b32 v12, v133 offset:512                           // 000000010680: D86C0200 0C000085
	ds_read_b32 v13, v133 offset:576                           // 000000010688: D86C0240 0D000085
	ds_read_b32 v14, v133 offset:640                           // 000000010690: D86C0280 0E000085
	ds_read_b32 v15, v133 offset:704                           // 000000010698: D86C02C0 0F000085
	ds_read_b32 v16, v133 offset:768                           // 0000000106A0: D86C0300 10000085
	ds_read_b32 v17, v133 offset:832                           // 0000000106A8: D86C0340 11000085
	ds_read_b32 v18, v133 offset:896                           // 0000000106B0: D86C0380 12000085
	ds_read_b32 v19, v133 offset:960                           // 0000000106B8: D86C03C0 13000085
	s_waitcnt lgkmcnt(0)                                       // 0000000106C0: BF8CC07F
	s_barrier                                                  // 0000000106C4: BF8A0000
	v_max3_f32 v130, |v4|, |v5|, v130                          // 0000000106C8: D1D30382 060A0B04
	v_max3_f32 v130, |v6|, |v7|, v130                          // 0000000106D0: D1D30382 060A0F06
	v_max3_f32 v130, |v8|, |v9|, v130                          // 0000000106D8: D1D30382 060A1308
	v_max3_f32 v130, |v10|, |v11|, v130                        // 0000000106E0: D1D30382 060A170A
	v_max3_f32 v130, |v12|, |v13|, v130                        // 0000000106E8: D1D30382 060A1B0C
	v_max3_f32 v130, |v14|, |v15|, v130                        // 0000000106F0: D1D30382 060A1F0E
	v_max3_f32 v130, |v16|, |v17|, v130                        // 0000000106F8: D1D30382 060A2310
	v_max3_f32 v130, |v18|, |v19|, v130                        // 000000010700: D1D30382 060A2712
	v_rcp_f32_e32 v130, v130                                   // 000000010708: 7F044582
	v_mov_b32_e32 v4, 0x43700000                               // 00000001070C: 7E0802FF 43700000
	v_mul_f32_e32 v130, v4, v130                               // 000000010714: 0B050504
	v_mov_b32_e32 v4, v130                                     // 000000010718: 7E080382
	v_mov_b32_e32 v5, v4                                       // 00000001071C: 7E0A0304
	v_pk_mul_f32 v[100:101], v[4:5], v[100:101]                // 000000010720: D3B14064 1802C904
	v_pk_mul_f32 v[102:103], v[4:5], v[102:103]                // 000000010728: D3B14066 1802CD04
	v_cvt_pk_fp8_f32 v100, v100, v101                          // 000000010730: D2A20064 0002CB64
	v_cvt_pk_fp8_f32 v100, v102, v103 op_sel:[0,0,1]           // 000000010738: D2A24064 0002CF66
	v_pk_mul_f32 v[116:117], v[4:5], v[116:117]                // 000000010740: D3B14074 1802E904
	v_pk_mul_f32 v[118:119], v[4:5], v[118:119]                // 000000010748: D3B14076 1802ED04
	v_cvt_pk_fp8_f32 v116, v116, v117                          // 000000010750: D2A20074 0002EB74
	v_cvt_pk_fp8_f32 v116, v118, v119 op_sel:[0,0,1]           // 000000010758: D2A24074 0002EF76
	v_rcp_f32_e32 v130, v130                                   // 000000010760: 7F044582
	v_mov_b32_e32 v127, 0x358637bd                             // 000000010764: 7EFE02FF 358637BD
	v_max3_f32 v127, |v72|, |v73|, v127                        // 00000001076C: D1D3037F 05FE9348
	v_max3_f32 v127, |v74|, |v75|, v127                        // 000000010774: D1D3037F 05FE974A
	v_max3_f32 v127, |v88|, |v89|, v127                        // 00000001077C: D1D3037F 05FEB358
	v_max3_f32 v127, |v90|, |v91|, v127                        // 000000010784: D1D3037F 05FEB75A
	ds_write_b32 v132, v127                                    // 00000001078C: D81A0000 00007F84
	s_waitcnt lgkmcnt(0)                                       // 000000010794: BF8CC07F
	s_barrier                                                  // 000000010798: BF8A0000
	ds_read_b32 v4, v133                                       // 00000001079C: D86C0000 04000085
	ds_read_b32 v5, v133 offset:64                             // 0000000107A4: D86C0040 05000085
	ds_read_b32 v6, v133 offset:128                            // 0000000107AC: D86C0080 06000085
	ds_read_b32 v7, v133 offset:192                            // 0000000107B4: D86C00C0 07000085
	ds_read_b32 v8, v133 offset:256                            // 0000000107BC: D86C0100 08000085
	ds_read_b32 v9, v133 offset:320                            // 0000000107C4: D86C0140 09000085
	ds_read_b32 v10, v133 offset:384                           // 0000000107CC: D86C0180 0A000085
	ds_read_b32 v11, v133 offset:448                           // 0000000107D4: D86C01C0 0B000085
	ds_read_b32 v12, v133 offset:512                           // 0000000107DC: D86C0200 0C000085
	ds_read_b32 v13, v133 offset:576                           // 0000000107E4: D86C0240 0D000085
	ds_read_b32 v14, v133 offset:640                           // 0000000107EC: D86C0280 0E000085
	ds_read_b32 v15, v133 offset:704                           // 0000000107F4: D86C02C0 0F000085
	ds_read_b32 v16, v133 offset:768                           // 0000000107FC: D86C0300 10000085
	ds_read_b32 v17, v133 offset:832                           // 000000010804: D86C0340 11000085
	ds_read_b32 v18, v133 offset:896                           // 00000001080C: D86C0380 12000085
	ds_read_b32 v19, v133 offset:960                           // 000000010814: D86C03C0 13000085
	s_waitcnt lgkmcnt(0)                                       // 00000001081C: BF8CC07F
	s_barrier                                                  // 000000010820: BF8A0000
	v_max3_f32 v127, |v4|, |v5|, v127                          // 000000010824: D1D3037F 05FE0B04
	v_max3_f32 v127, |v6|, |v7|, v127                          // 00000001082C: D1D3037F 05FE0F06
	v_max3_f32 v127, |v8|, |v9|, v127                          // 000000010834: D1D3037F 05FE1308
	v_max3_f32 v127, |v10|, |v11|, v127                        // 00000001083C: D1D3037F 05FE170A
	v_max3_f32 v127, |v12|, |v13|, v127                        // 000000010844: D1D3037F 05FE1B0C
	v_max3_f32 v127, |v14|, |v15|, v127                        // 00000001084C: D1D3037F 05FE1F0E
	v_max3_f32 v127, |v16|, |v17|, v127                        // 000000010854: D1D3037F 05FE2310
	v_max3_f32 v127, |v18|, |v19|, v127                        // 00000001085C: D1D3037F 05FE2712
	v_rcp_f32_e32 v127, v127                                   // 000000010864: 7EFE457F
	v_mov_b32_e32 v4, 0x43700000                               // 000000010868: 7E0802FF 43700000
	v_mul_f32_e32 v127, v4, v127                               // 000000010870: 0AFEFF04
	v_mov_b32_e32 v4, v127                                     // 000000010874: 7E08037F
	v_mov_b32_e32 v5, v4                                       // 000000010878: 7E0A0304
	v_pk_mul_f32 v[72:73], v[4:5], v[72:73]                    // 00000001087C: D3B14048 18029104
	v_pk_mul_f32 v[74:75], v[4:5], v[74:75]                    // 000000010884: D3B1404A 18029504
	v_cvt_pk_fp8_f32 v72, v72, v73                             // 00000001088C: D2A20048 00029348
	v_cvt_pk_fp8_f32 v72, v74, v75 op_sel:[0,0,1]              // 000000010894: D2A24048 0002974A
	v_pk_mul_f32 v[88:89], v[4:5], v[88:89]                    // 00000001089C: D3B14058 1802B104
	v_pk_mul_f32 v[90:91], v[4:5], v[90:91]                    // 0000000108A4: D3B1405A 1802B504
	v_cvt_pk_fp8_f32 v88, v88, v89                             // 0000000108AC: D2A20058 0002B358
	v_cvt_pk_fp8_f32 v88, v90, v91 op_sel:[0,0,1]              // 0000000108B4: D2A24058 0002B75A
	v_rcp_f32_e32 v127, v127                                   // 0000000108BC: 7EFE457F
	v_mov_b32_e32 v131, 0x358637bd                             // 0000000108C0: 7F0602FF 358637BD
	v_max3_f32 v131, |v104|, |v105|, v131                      // 0000000108C8: D1D30383 060ED368
	v_max3_f32 v131, |v106|, |v107|, v131                      // 0000000108D0: D1D30383 060ED76A
	v_max3_f32 v131, |v120|, |v121|, v131                      // 0000000108D8: D1D30383 060EF378
	v_max3_f32 v131, |v122|, |v123|, v131                      // 0000000108E0: D1D30383 060EF77A
	ds_write_b32 v132, v131                                    // 0000000108E8: D81A0000 00008384
	s_waitcnt lgkmcnt(0)                                       // 0000000108F0: BF8CC07F
	s_barrier                                                  // 0000000108F4: BF8A0000
	ds_read_b32 v4, v133                                       // 0000000108F8: D86C0000 04000085
	ds_read_b32 v5, v133 offset:64                             // 000000010900: D86C0040 05000085
	ds_read_b32 v6, v133 offset:128                            // 000000010908: D86C0080 06000085
	ds_read_b32 v7, v133 offset:192                            // 000000010910: D86C00C0 07000085
	ds_read_b32 v8, v133 offset:256                            // 000000010918: D86C0100 08000085
	ds_read_b32 v9, v133 offset:320                            // 000000010920: D86C0140 09000085
	ds_read_b32 v10, v133 offset:384                           // 000000010928: D86C0180 0A000085
	ds_read_b32 v11, v133 offset:448                           // 000000010930: D86C01C0 0B000085
	ds_read_b32 v12, v133 offset:512                           // 000000010938: D86C0200 0C000085
	ds_read_b32 v13, v133 offset:576                           // 000000010940: D86C0240 0D000085
	ds_read_b32 v14, v133 offset:640                           // 000000010948: D86C0280 0E000085
	ds_read_b32 v15, v133 offset:704                           // 000000010950: D86C02C0 0F000085
	ds_read_b32 v16, v133 offset:768                           // 000000010958: D86C0300 10000085
	ds_read_b32 v17, v133 offset:832                           // 000000010960: D86C0340 11000085
	ds_read_b32 v18, v133 offset:896                           // 000000010968: D86C0380 12000085
	ds_read_b32 v19, v133 offset:960                           // 000000010970: D86C03C0 13000085
	s_waitcnt lgkmcnt(0)                                       // 000000010978: BF8CC07F
	s_barrier                                                  // 00000001097C: BF8A0000
	v_max3_f32 v131, |v4|, |v5|, v131                          // 000000010980: D1D30383 060E0B04
	v_max3_f32 v131, |v6|, |v7|, v131                          // 000000010988: D1D30383 060E0F06
	v_max3_f32 v131, |v8|, |v9|, v131                          // 000000010990: D1D30383 060E1308
	v_max3_f32 v131, |v10|, |v11|, v131                        // 000000010998: D1D30383 060E170A
	v_max3_f32 v131, |v12|, |v13|, v131                        // 0000000109A0: D1D30383 060E1B0C
	v_max3_f32 v131, |v14|, |v15|, v131                        // 0000000109A8: D1D30383 060E1F0E
	v_max3_f32 v131, |v16|, |v17|, v131                        // 0000000109B0: D1D30383 060E2310
	v_max3_f32 v131, |v18|, |v19|, v131                        // 0000000109B8: D1D30383 060E2712
	v_rcp_f32_e32 v131, v131                                   // 0000000109C0: 7F064583
	v_mov_b32_e32 v4, 0x43700000                               // 0000000109C4: 7E0802FF 43700000
	v_mul_f32_e32 v131, v4, v131                               // 0000000109CC: 0B070704
	v_mov_b32_e32 v4, v131                                     // 0000000109D0: 7E080383
	v_mov_b32_e32 v5, v4                                       // 0000000109D4: 7E0A0304
	v_pk_mul_f32 v[104:105], v[4:5], v[104:105]                // 0000000109D8: D3B14068 1802D104
	v_pk_mul_f32 v[106:107], v[4:5], v[106:107]                // 0000000109E0: D3B1406A 1802D504
	v_cvt_pk_fp8_f32 v104, v104, v105                          // 0000000109E8: D2A20068 0002D368
	v_cvt_pk_fp8_f32 v104, v106, v107 op_sel:[0,0,1]           // 0000000109F0: D2A24068 0002D76A
	v_pk_mul_f32 v[120:121], v[4:5], v[120:121]                // 0000000109F8: D3B14078 1802F104
	v_pk_mul_f32 v[122:123], v[4:5], v[122:123]                // 000000010A00: D3B1407A 1802F504
	v_cvt_pk_fp8_f32 v120, v120, v121                          // 000000010A08: D2A20078 0002F378
	v_cvt_pk_fp8_f32 v120, v122, v123 op_sel:[0,0,1]           // 000000010A10: D2A24078 0002F77A
	v_rcp_f32_e32 v131, v131                                   // 000000010A18: 7F064583
	v_lshrrev_b32_e32 v4, 5, v0                                // 000000010A1C: 20080085
	v_mul_lo_u32 v20, 34, v4                                   // 000000010A20: D2850014 000208A2
	v_and_b32_e32 v4, 31, v0                                   // 000000010A28: 2608009F
	v_lshrrev_b32_e32 v5, 4, v4                                // 000000010A2C: 200A0884
	v_add_u32_e32 v20, v5, v20                                 // 000000010A30: 68282905
	v_and_b32_e32 v4, 15, v0                                   // 000000010A34: 2608008F
	v_mul_lo_u32 v5, 2, v4                                     // 000000010A38: D2850005 00020882
	v_add_u32_e32 v20, v5, v20                                 // 000000010A40: 68282905
	s_mul_i32 s60, s7, 0x44                                    // 000000010A44: 923CFF07 00000044
	v_add_u32_e32 v20, s60, v20                                // 000000010A4C: 6828283C
	v_lshlrev_b32_e32 v20, 2, v20                              // 000000010A50: 24282882
	ds_write_b32 v20, v60                                      // 000000010A54: D81A0000 00003C14
	ds_write_b32 v20, v64 offset:4352                          // 000000010A5C: D81A1100 00004014
	ds_write_b32 v20, v68 offset:8704                          // 000000010A64: D81A2200 00004414
	ds_write_b32 v20, v72 offset:13056                         // 000000010A6C: D81A3300 00004814
	ds_write_b32 v20, v76 offset:1088                          // 000000010A74: D81A0440 00004C14
	ds_write_b32 v20, v80 offset:5440                          // 000000010A7C: D81A1540 00005014
	ds_write_b32 v20, v84 offset:9792                          // 000000010A84: D81A2640 00005414
	ds_write_b32 v20, v88 offset:14144                         // 000000010A8C: D81A3740 00005814
	ds_write_b32 v20, v92 offset:2176                          // 000000010A94: D81A0880 00005C14
	ds_write_b32 v20, v96 offset:6528                          // 000000010A9C: D81A1980 00006014
	ds_write_b32 v20, v100 offset:10880                        // 000000010AA4: D81A2A80 00006414
	ds_write_b32 v20, v104 offset:15232                        // 000000010AAC: D81A3B80 00006814
	ds_write_b32 v20, v108 offset:3264                         // 000000010AB4: D81A0CC0 00006C14
	ds_write_b32 v20, v112 offset:7616                         // 000000010ABC: D81A1DC0 00007014
	ds_write_b32 v20, v116 offset:11968                        // 000000010AC4: D81A2EC0 00007414
	ds_write_b32 v20, v120 offset:16320                        // 000000010ACC: D81A3FC0 00007814
	v_lshrrev_b32_e32 v4, 5, v0                                // 000000010AD4: 20080085
	v_xor_b32_e32 v5, 1, v4                                    // 000000010AD8: 2A0A0881
	s_mul_i32 s60, s65, 1                                      // 000000010ADC: 923C8141
	s_cmp_eq_u32 s88, 0                                        // 000000010AE0: BF068058
	s_cselect_b32 s61, 1, 8                                    // 000000010AE4: 853D8881
	s_mul_i32 s60, s61, s60                                    // 000000010AE8: 923C3C3D
	v_readlane_b32 s82, v3, 0                                  // 000000010AEC: D2890052 00010103
	s_lshr_b32 s61, s82, 24                                    // 000000010AF4: 8F3D9852
	s_and_b32 s82, s82, 0xffffff                               // 000000010AF8: 8652FF52 00FFFFFF
	s_mul_i32 s82, s82, s71                                    // 000000010B00: 92524752
	s_mul_i32 s61, s60, s61                                    // 000000010B04: 923D3D3C
	s_add_u32 s82, s82, s61                                    // 000000010B08: 80523D52
	v_mul_lo_u32 v6, v5, s82                                   // 000000010B0C: D2850006 0000A505
	v_readlane_b32 s82, v3, 1                                  // 000000010B14: D2890052 00010303
	s_lshr_b32 s61, s82, 24                                    // 000000010B1C: 8F3D9852
	s_and_b32 s82, s82, 0xffffff                               // 000000010B20: 8652FF52 00FFFFFF
	s_mul_i32 s82, s82, s71                                    // 000000010B28: 92524752
	s_mul_i32 s61, s60, s61                                    // 000000010B2C: 923D3D3C
	s_add_u32 s82, s82, s61                                    // 000000010B30: 80523D52
	v_mul_lo_u32 v7, v4, s82                                   // 000000010B34: D2850007 0000A504
	v_add_u32_e32 v46, v6, v7                                  // 000000010B3C: 685C0F06
	v_readlane_b32 s82, v3, 2                                  // 000000010B40: D2890052 00010503
	s_lshr_b32 s61, s82, 24                                    // 000000010B48: 8F3D9852
	s_and_b32 s82, s82, 0xffffff                               // 000000010B4C: 8652FF52 00FFFFFF
	s_mul_i32 s82, s82, s71                                    // 000000010B54: 92524752
	s_mul_i32 s61, s60, s61                                    // 000000010B58: 923D3D3C
	s_add_u32 s82, s82, s61                                    // 000000010B5C: 80523D52
	v_mul_lo_u32 v6, v5, s82                                   // 000000010B60: D2850006 0000A505
	v_readlane_b32 s82, v3, 3                                  // 000000010B68: D2890052 00010703
	s_lshr_b32 s61, s82, 24                                    // 000000010B70: 8F3D9852
	s_and_b32 s82, s82, 0xffffff                               // 000000010B74: 8652FF52 00FFFFFF
	s_mul_i32 s82, s82, s71                                    // 000000010B7C: 92524752
	s_mul_i32 s61, s60, s61                                    // 000000010B80: 923D3D3C
	s_add_u32 s82, s82, s61                                    // 000000010B84: 80523D52
	v_mul_lo_u32 v7, v4, s82                                   // 000000010B88: D2850007 0000A504
	v_add_u32_e32 v47, v6, v7                                  // 000000010B90: 685E0F06
	v_readlane_b32 s82, v3, 4                                  // 000000010B94: D2890052 00010903
	s_lshr_b32 s61, s82, 24                                    // 000000010B9C: 8F3D9852
	s_and_b32 s82, s82, 0xffffff                               // 000000010BA0: 8652FF52 00FFFFFF
	s_mul_i32 s82, s82, s71                                    // 000000010BA8: 92524752
	s_mul_i32 s61, s60, s61                                    // 000000010BAC: 923D3D3C
	s_add_u32 s82, s82, s61                                    // 000000010BB0: 80523D52
	v_mul_lo_u32 v6, v5, s82                                   // 000000010BB4: D2850006 0000A505
	v_readlane_b32 s82, v3, 5                                  // 000000010BBC: D2890052 00010B03
	s_lshr_b32 s61, s82, 24                                    // 000000010BC4: 8F3D9852
	s_and_b32 s82, s82, 0xffffff                               // 000000010BC8: 8652FF52 00FFFFFF
	s_mul_i32 s82, s82, s71                                    // 000000010BD0: 92524752
	s_mul_i32 s61, s60, s61                                    // 000000010BD4: 923D3D3C
	s_add_u32 s82, s82, s61                                    // 000000010BD8: 80523D52
	v_mul_lo_u32 v7, v4, s82                                   // 000000010BDC: D2850007 0000A504
	v_add_u32_e32 v48, v6, v7                                  // 000000010BE4: 68600F06
	v_readlane_b32 s82, v3, 6                                  // 000000010BE8: D2890052 00010D03
	s_lshr_b32 s61, s82, 24                                    // 000000010BF0: 8F3D9852
	s_and_b32 s82, s82, 0xffffff                               // 000000010BF4: 8652FF52 00FFFFFF
	s_mul_i32 s82, s82, s71                                    // 000000010BFC: 92524752
	s_mul_i32 s61, s60, s61                                    // 000000010C00: 923D3D3C
	s_add_u32 s82, s82, s61                                    // 000000010C04: 80523D52
	v_mul_lo_u32 v6, v5, s82                                   // 000000010C08: D2850006 0000A505
	v_readlane_b32 s82, v3, 7                                  // 000000010C10: D2890052 00010F03
	s_lshr_b32 s61, s82, 24                                    // 000000010C18: 8F3D9852
	s_and_b32 s82, s82, 0xffffff                               // 000000010C1C: 8652FF52 00FFFFFF
	s_mul_i32 s82, s82, s71                                    // 000000010C24: 92524752
	s_mul_i32 s61, s60, s61                                    // 000000010C28: 923D3D3C
	s_add_u32 s82, s82, s61                                    // 000000010C2C: 80523D52
	v_mul_lo_u32 v7, v4, s82                                   // 000000010C30: D2850007 0000A504
	v_add_u32_e32 v49, v6, v7                                  // 000000010C38: 68620F06
	v_readlane_b32 s82, v3, 8                                  // 000000010C3C: D2890052 00011103
	s_lshr_b32 s61, s82, 24                                    // 000000010C44: 8F3D9852
	s_and_b32 s82, s82, 0xffffff                               // 000000010C48: 8652FF52 00FFFFFF
	s_mul_i32 s82, s82, s71                                    // 000000010C50: 92524752
	s_mul_i32 s61, s60, s61                                    // 000000010C54: 923D3D3C
	s_add_u32 s82, s82, s61                                    // 000000010C58: 80523D52
	v_mul_lo_u32 v6, v5, s82                                   // 000000010C5C: D2850006 0000A505
	v_readlane_b32 s82, v3, 9                                  // 000000010C64: D2890052 00011303
	s_lshr_b32 s61, s82, 24                                    // 000000010C6C: 8F3D9852
	s_and_b32 s82, s82, 0xffffff                               // 000000010C70: 8652FF52 00FFFFFF
	s_mul_i32 s82, s82, s71                                    // 000000010C78: 92524752
	s_mul_i32 s61, s60, s61                                    // 000000010C7C: 923D3D3C
	s_add_u32 s82, s82, s61                                    // 000000010C80: 80523D52
	v_mul_lo_u32 v7, v4, s82                                   // 000000010C84: D2850007 0000A504
	v_add_u32_e32 v50, v6, v7                                  // 000000010C8C: 68640F06
	v_readlane_b32 s82, v3, 10                                 // 000000010C90: D2890052 00011503
	s_lshr_b32 s61, s82, 24                                    // 000000010C98: 8F3D9852
	s_and_b32 s82, s82, 0xffffff                               // 000000010C9C: 8652FF52 00FFFFFF
	s_mul_i32 s82, s82, s71                                    // 000000010CA4: 92524752
	s_mul_i32 s61, s60, s61                                    // 000000010CA8: 923D3D3C
	s_add_u32 s82, s82, s61                                    // 000000010CAC: 80523D52
	v_mul_lo_u32 v6, v5, s82                                   // 000000010CB0: D2850006 0000A505
	v_readlane_b32 s82, v3, 11                                 // 000000010CB8: D2890052 00011703
	s_lshr_b32 s61, s82, 24                                    // 000000010CC0: 8F3D9852
	s_and_b32 s82, s82, 0xffffff                               // 000000010CC4: 8652FF52 00FFFFFF
	s_mul_i32 s82, s82, s71                                    // 000000010CCC: 92524752
	s_mul_i32 s61, s60, s61                                    // 000000010CD0: 923D3D3C
	s_add_u32 s82, s82, s61                                    // 000000010CD4: 80523D52
	v_mul_lo_u32 v7, v4, s82                                   // 000000010CD8: D2850007 0000A504
	v_add_u32_e32 v51, v6, v7                                  // 000000010CE0: 68660F06
	v_readlane_b32 s82, v3, 12                                 // 000000010CE4: D2890052 00011903
	s_lshr_b32 s61, s82, 24                                    // 000000010CEC: 8F3D9852
	s_and_b32 s82, s82, 0xffffff                               // 000000010CF0: 8652FF52 00FFFFFF
	s_mul_i32 s82, s82, s71                                    // 000000010CF8: 92524752
	s_mul_i32 s61, s60, s61                                    // 000000010CFC: 923D3D3C
	s_add_u32 s82, s82, s61                                    // 000000010D00: 80523D52
	v_mul_lo_u32 v6, v5, s82                                   // 000000010D04: D2850006 0000A505
	v_readlane_b32 s82, v3, 13                                 // 000000010D0C: D2890052 00011B03
	s_lshr_b32 s61, s82, 24                                    // 000000010D14: 8F3D9852
	s_and_b32 s82, s82, 0xffffff                               // 000000010D18: 8652FF52 00FFFFFF
	s_mul_i32 s82, s82, s71                                    // 000000010D20: 92524752
	s_mul_i32 s61, s60, s61                                    // 000000010D24: 923D3D3C
	s_add_u32 s82, s82, s61                                    // 000000010D28: 80523D52
	v_mul_lo_u32 v7, v4, s82                                   // 000000010D2C: D2850007 0000A504
	v_add_u32_e32 v52, v6, v7                                  // 000000010D34: 68680F06
	v_readlane_b32 s82, v3, 14                                 // 000000010D38: D2890052 00011D03
	s_lshr_b32 s61, s82, 24                                    // 000000010D40: 8F3D9852
	s_and_b32 s82, s82, 0xffffff                               // 000000010D44: 8652FF52 00FFFFFF
	s_mul_i32 s82, s82, s71                                    // 000000010D4C: 92524752
	s_mul_i32 s61, s60, s61                                    // 000000010D50: 923D3D3C
	s_add_u32 s82, s82, s61                                    // 000000010D54: 80523D52
	v_mul_lo_u32 v6, v5, s82                                   // 000000010D58: D2850006 0000A505
	v_readlane_b32 s82, v3, 15                                 // 000000010D60: D2890052 00011F03
	s_lshr_b32 s61, s82, 24                                    // 000000010D68: 8F3D9852
	s_and_b32 s82, s82, 0xffffff                               // 000000010D6C: 8652FF52 00FFFFFF
	s_mul_i32 s82, s82, s71                                    // 000000010D74: 92524752
	s_mul_i32 s61, s60, s61                                    // 000000010D78: 923D3D3C
	s_add_u32 s82, s82, s61                                    // 000000010D7C: 80523D52
	v_mul_lo_u32 v7, v4, s82                                   // 000000010D80: D2850007 0000A504
	v_add_u32_e32 v53, v6, v7                                  // 000000010D88: 686A0F06
	v_and_b32_e32 v4, 31, v0                                   // 000000010D8C: 2608009F
	v_lshrrev_b32_e32 v4, 1, v4                                // 000000010D90: 20080881
	s_cmp_eq_u32 s88, 0                                        // 000000010D94: BF068058
	s_cselect_b32 s61, 2, 4                                    // 000000010D98: 853D8482
	v_mul_lo_u32 v4, v4, s61                                   // 000000010D9C: D2850004 00007B04
	v_and_b32_e64 v5, v0, 1                                    // 000000010DA4: D1130005 00010300
	v_add_u32_e32 v4, v4, v5                                   // 000000010DAC: 68080B04
	v_lshlrev_b32_e32 v4, 2, v4                                // 000000010DB0: 24080882
	v_add_u32_e32 v46, v46, v4                                 // 000000010DB4: 685C092E
	v_add_u32_e32 v47, v47, v4                                 // 000000010DB8: 685E092F
	v_add_u32_e32 v48, v48, v4                                 // 000000010DBC: 68600930
	v_add_u32_e32 v49, v49, v4                                 // 000000010DC0: 68620931
	v_add_u32_e32 v50, v50, v4                                 // 000000010DC4: 68640932
	v_add_u32_e32 v51, v51, v4                                 // 000000010DC8: 68660933
	v_add_u32_e32 v52, v52, v4                                 // 000000010DCC: 68680934
	v_add_u32_e32 v53, v53, v4                                 // 000000010DD0: 686A0935
	s_waitcnt lgkmcnt(0)                                       // 000000010DD4: BF8CC07F
	s_barrier                                                  // 000000010DD8: BF8A0000
	ds_read_b32 v60, v21                                       // 000000010DDC: D86C0000 3C000015
	ds_read_b32 v61, v21 offset:64                             // 000000010DE4: D86C0040 3D000015
	ds_read_b32 v62, v21 offset:2176                           // 000000010DEC: D86C0880 3E000015
	ds_read_b32 v63, v21 offset:2240                           // 000000010DF4: D86C08C0 3F000015
	ds_read_b32 v64, v21 offset:4352                           // 000000010DFC: D86C1100 40000015
	ds_read_b32 v65, v21 offset:4416                           // 000000010E04: D86C1140 41000015
	ds_read_b32 v66, v21 offset:6528                           // 000000010E0C: D86C1980 42000015
	ds_read_b32 v67, v21 offset:6592                           // 000000010E14: D86C19C0 43000015
	ds_read_b32 v68, v21 offset:8704                           // 000000010E1C: D86C2200 44000015
	ds_read_b32 v69, v21 offset:8768                           // 000000010E24: D86C2240 45000015
	ds_read_b32 v70, v21 offset:10880                          // 000000010E2C: D86C2A80 46000015
	ds_read_b32 v71, v21 offset:10944                          // 000000010E34: D86C2AC0 47000015
	ds_read_b32 v72, v21 offset:13056                          // 000000010E3C: D86C3300 48000015
	ds_read_b32 v73, v21 offset:13120                          // 000000010E44: D86C3340 49000015
	ds_read_b32 v74, v21 offset:15232                          // 000000010E4C: D86C3B80 4A000015
	ds_read_b32 v75, v21 offset:15296                          // 000000010E54: D86C3BC0 4B000015
	s_waitcnt lgkmcnt(0)                                       // 000000010E5C: BF8CC07F
	s_mov_b32 s36, -1                                          // 000000010E60: BEA400C1
	s_mov_b32 s37, -1                                          // 000000010E64: BEA500C1
	v_mov_b32_e32 v7, 0                                        // 000000010E68: 7E0E0280
	s_or_b32 s9, s9, 0x40000                                   // 000000010E6C: 8709FF09 00040000
	s_mov_b64 exec, s[36:37]                                   // 000000010E74: BEFE0124
	v_mov_b32_e32 v6, v46                                      // 000000010E78: 7E0C032E
	s_mov_b64 s[60:61], 0                                      // 000000010E7C: BEBC0180
	v_readlane_b32 s82, v3, 0                                  // 000000010E80: D2890052 00010103
	s_and_b32 s82, s82, 0xffffff                               // 000000010E88: 8652FF52 00FFFFFF
	s_cmp_lt_u32 s82, s66                                      // 000000010E90: BF0A4252
	s_cselect_b32 s20, s36, s60                                // 000000010E94: 85143C24
	v_readlane_b32 s82, v3, 1                                  // 000000010E98: D2890052 00010303
	s_and_b32 s82, s82, 0xffffff                               // 000000010EA0: 8652FF52 00FFFFFF
	s_cmp_lt_u32 s82, s66                                      // 000000010EA8: BF0A4252
	s_cselect_b32 s21, s36, s60                                // 000000010EAC: 85153C24
	s_mov_b64 exec, s[20:21]                                   // 000000010EB0: BEFE0114
	buffer_store_dword v60, v6, s[8:11], 0 offen               // 000000010EB4: E0701000 80023C06
	buffer_store_dword v62, v6, s[8:11], 0 offen offset:128    // 000000010EBC: E0701080 80023E06
	s_mov_b64 exec, s[36:37]                                   // 000000010EC4: BEFE0124
	v_mov_b32_e32 v6, v47                                      // 000000010EC8: 7E0C032F
	s_mov_b64 s[60:61], 0                                      // 000000010ECC: BEBC0180
	v_readlane_b32 s82, v3, 2                                  // 000000010ED0: D2890052 00010503
	s_and_b32 s82, s82, 0xffffff                               // 000000010ED8: 8652FF52 00FFFFFF
	s_cmp_lt_u32 s82, s66                                      // 000000010EE0: BF0A4252
	s_cselect_b32 s20, s36, s60                                // 000000010EE4: 85143C24
	v_readlane_b32 s82, v3, 3                                  // 000000010EE8: D2890052 00010703
	s_and_b32 s82, s82, 0xffffff                               // 000000010EF0: 8652FF52 00FFFFFF
	s_cmp_lt_u32 s82, s66                                      // 000000010EF8: BF0A4252
	s_cselect_b32 s21, s36, s60                                // 000000010EFC: 85153C24
	s_mov_b64 exec, s[20:21]                                   // 000000010F00: BEFE0114
	buffer_store_dword v61, v6, s[8:11], 0 offen               // 000000010F04: E0701000 80023D06
	buffer_store_dword v63, v6, s[8:11], 0 offen offset:128    // 000000010F0C: E0701080 80023F06
	s_mov_b64 exec, s[36:37]                                   // 000000010F14: BEFE0124
	v_mov_b32_e32 v6, v48                                      // 000000010F18: 7E0C0330
	s_mov_b64 s[60:61], 0                                      // 000000010F1C: BEBC0180
	v_readlane_b32 s82, v3, 4                                  // 000000010F20: D2890052 00010903
	s_and_b32 s82, s82, 0xffffff                               // 000000010F28: 8652FF52 00FFFFFF
	s_cmp_lt_u32 s82, s66                                      // 000000010F30: BF0A4252
	s_cselect_b32 s20, s36, s60                                // 000000010F34: 85143C24
	v_readlane_b32 s82, v3, 5                                  // 000000010F38: D2890052 00010B03
	s_and_b32 s82, s82, 0xffffff                               // 000000010F40: 8652FF52 00FFFFFF
	s_cmp_lt_u32 s82, s66                                      // 000000010F48: BF0A4252
	s_cselect_b32 s21, s36, s60                                // 000000010F4C: 85153C24
	s_mov_b64 exec, s[20:21]                                   // 000000010F50: BEFE0114
	buffer_store_dword v64, v6, s[8:11], 0 offen               // 000000010F54: E0701000 80024006
	buffer_store_dword v66, v6, s[8:11], 0 offen offset:128    // 000000010F5C: E0701080 80024206
	s_mov_b64 exec, s[36:37]                                   // 000000010F64: BEFE0124
	v_mov_b32_e32 v6, v49                                      // 000000010F68: 7E0C0331
	s_mov_b64 s[60:61], 0                                      // 000000010F6C: BEBC0180
	v_readlane_b32 s82, v3, 6                                  // 000000010F70: D2890052 00010D03
	s_and_b32 s82, s82, 0xffffff                               // 000000010F78: 8652FF52 00FFFFFF
	s_cmp_lt_u32 s82, s66                                      // 000000010F80: BF0A4252
	s_cselect_b32 s20, s36, s60                                // 000000010F84: 85143C24
	v_readlane_b32 s82, v3, 7                                  // 000000010F88: D2890052 00010F03
	s_and_b32 s82, s82, 0xffffff                               // 000000010F90: 8652FF52 00FFFFFF
	s_cmp_lt_u32 s82, s66                                      // 000000010F98: BF0A4252
	s_cselect_b32 s21, s36, s60                                // 000000010F9C: 85153C24
	s_mov_b64 exec, s[20:21]                                   // 000000010FA0: BEFE0114
	buffer_store_dword v65, v6, s[8:11], 0 offen               // 000000010FA4: E0701000 80024106
	buffer_store_dword v67, v6, s[8:11], 0 offen offset:128    // 000000010FAC: E0701080 80024306
	s_mov_b64 exec, s[36:37]                                   // 000000010FB4: BEFE0124
	v_mov_b32_e32 v6, v50                                      // 000000010FB8: 7E0C0332
	s_mov_b64 s[60:61], 0                                      // 000000010FBC: BEBC0180
	v_readlane_b32 s82, v3, 8                                  // 000000010FC0: D2890052 00011103
	s_and_b32 s82, s82, 0xffffff                               // 000000010FC8: 8652FF52 00FFFFFF
	s_cmp_lt_u32 s82, s66                                      // 000000010FD0: BF0A4252
	s_cselect_b32 s20, s36, s60                                // 000000010FD4: 85143C24
	v_readlane_b32 s82, v3, 9                                  // 000000010FD8: D2890052 00011303
	s_and_b32 s82, s82, 0xffffff                               // 000000010FE0: 8652FF52 00FFFFFF
	s_cmp_lt_u32 s82, s66                                      // 000000010FE8: BF0A4252
	s_cselect_b32 s21, s36, s60                                // 000000010FEC: 85153C24
	s_mov_b64 exec, s[20:21]                                   // 000000010FF0: BEFE0114
	buffer_store_dword v68, v6, s[8:11], 0 offen               // 000000010FF4: E0701000 80024406
	buffer_store_dword v70, v6, s[8:11], 0 offen offset:128    // 000000010FFC: E0701080 80024606
	s_mov_b64 exec, s[36:37]                                   // 000000011004: BEFE0124
	v_mov_b32_e32 v6, v51                                      // 000000011008: 7E0C0333
	s_mov_b64 s[60:61], 0                                      // 00000001100C: BEBC0180
	v_readlane_b32 s82, v3, 10                                 // 000000011010: D2890052 00011503
	s_and_b32 s82, s82, 0xffffff                               // 000000011018: 8652FF52 00FFFFFF
	s_cmp_lt_u32 s82, s66                                      // 000000011020: BF0A4252
	s_cselect_b32 s20, s36, s60                                // 000000011024: 85143C24
	v_readlane_b32 s82, v3, 11                                 // 000000011028: D2890052 00011703
	s_and_b32 s82, s82, 0xffffff                               // 000000011030: 8652FF52 00FFFFFF
	s_cmp_lt_u32 s82, s66                                      // 000000011038: BF0A4252
	s_cselect_b32 s21, s36, s60                                // 00000001103C: 85153C24
	s_mov_b64 exec, s[20:21]                                   // 000000011040: BEFE0114
	buffer_store_dword v69, v6, s[8:11], 0 offen               // 000000011044: E0701000 80024506
	buffer_store_dword v71, v6, s[8:11], 0 offen offset:128    // 00000001104C: E0701080 80024706
	s_mov_b64 exec, s[36:37]                                   // 000000011054: BEFE0124
	v_mov_b32_e32 v6, v52                                      // 000000011058: 7E0C0334
	s_mov_b64 s[60:61], 0                                      // 00000001105C: BEBC0180
	v_readlane_b32 s82, v3, 12                                 // 000000011060: D2890052 00011903
	s_and_b32 s82, s82, 0xffffff                               // 000000011068: 8652FF52 00FFFFFF
	s_cmp_lt_u32 s82, s66                                      // 000000011070: BF0A4252
	s_cselect_b32 s20, s36, s60                                // 000000011074: 85143C24
	v_readlane_b32 s82, v3, 13                                 // 000000011078: D2890052 00011B03
	s_and_b32 s82, s82, 0xffffff                               // 000000011080: 8652FF52 00FFFFFF
	s_cmp_lt_u32 s82, s66                                      // 000000011088: BF0A4252
	s_cselect_b32 s21, s36, s60                                // 00000001108C: 85153C24
	s_mov_b64 exec, s[20:21]                                   // 000000011090: BEFE0114
	buffer_store_dword v72, v6, s[8:11], 0 offen               // 000000011094: E0701000 80024806
	buffer_store_dword v74, v6, s[8:11], 0 offen offset:128    // 00000001109C: E0701080 80024A06
	s_mov_b64 exec, s[36:37]                                   // 0000000110A4: BEFE0124
	v_mov_b32_e32 v6, v53                                      // 0000000110A8: 7E0C0335
	s_mov_b64 s[60:61], 0                                      // 0000000110AC: BEBC0180
	v_readlane_b32 s82, v3, 14                                 // 0000000110B0: D2890052 00011D03
	s_and_b32 s82, s82, 0xffffff                               // 0000000110B8: 8652FF52 00FFFFFF
	s_cmp_lt_u32 s82, s66                                      // 0000000110C0: BF0A4252
	s_cselect_b32 s20, s36, s60                                // 0000000110C4: 85143C24
	v_readlane_b32 s82, v3, 15                                 // 0000000110C8: D2890052 00011F03
	s_and_b32 s82, s82, 0xffffff                               // 0000000110D0: 8652FF52 00FFFFFF
	s_cmp_lt_u32 s82, s66                                      // 0000000110D8: BF0A4252
	s_cselect_b32 s21, s36, s60                                // 0000000110DC: 85153C24
	s_mov_b64 exec, s[20:21]                                   // 0000000110E0: BEFE0114
	buffer_store_dword v73, v6, s[8:11], 0 offen               // 0000000110E4: E0701000 80024906
	buffer_store_dword v75, v6, s[8:11], 0 offen offset:128    // 0000000110EC: E0701080 80024B06
	s_mov_b64 exec, s[36:37]                                   // 0000000110F4: BEFE0124
	s_cmp_eq_u32 s7, 0                                         // 0000000110F8: BF068007
	s_cbranch_scc0 label_3F60                                  // 0000000110FC: BF84059D
	s_waitcnt vmcnt(16)                                        // 000000011100: BF8C4F70
	s_mov_b32 s8, s90                                          // 000000011104: BE88005A
	s_mov_b32 s9, s91                                          // 000000011108: BE89005B
	s_mul_i32 s60, s66, s71                                    // 00000001110C: 923C4742
	s_add_u32 s8, s60, s8                                      // 000000011110: 8008083C
	s_addc_u32 s9, 0, s9                                       // 000000011114: 82090980
	s_lshr_b32 s71, s71, 5                                     // 000000011118: 8F478547
	s_mul_i32 s60, s66, s71                                    // 00000001111C: 923C4742
	s_mov_b32 s10, s60                                         // 000000011120: BE8A003C
	s_lshr_b32 s61, s65, 5                                     // 000000011124: 8F3D8541
	s_mul_i32 s60, s2, 8                                       // 000000011128: 923C8802
	v_lshrrev_b32_e32 v4, 24, v30                              // 00000001112C: 20083C98
	v_mul_lo_u32 v4, s61, v4                                   // 000000011130: D2850004 0002083D
	v_and_b32_e32 v30, 0xffffff, v30                           // 000000011138: 263C3CFF 00FFFFFF
	v_mul_lo_u32 v30, s71, v30                                 // 000000011140: D285001E 00023C47
	v_add_u32_e32 v30, v4, v30                                 // 000000011148: 683C3D04
	v_add_u32_e32 v30, s60, v30                                // 00000001114C: 683C3C3C
	v_lshrrev_b32_e32 v4, 24, v31                              // 000000011150: 20083E98
	v_mul_lo_u32 v4, s61, v4                                   // 000000011154: D2850004 0002083D
	v_and_b32_e32 v31, 0xffffff, v31                           // 00000001115C: 263E3EFF 00FFFFFF
	v_mul_lo_u32 v31, s71, v31                                 // 000000011164: D285001F 00023E47
	v_add_u32_e32 v31, v4, v31                                 // 00000001116C: 683E3F04
	v_add_u32_e32 v31, s60, v31                                // 000000011170: 683E3E3C
	v_lshrrev_b32_e32 v4, 24, v32                              // 000000011174: 20084098
	v_mul_lo_u32 v4, s61, v4                                   // 000000011178: D2850004 0002083D
	v_and_b32_e32 v32, 0xffffff, v32                           // 000000011180: 264040FF 00FFFFFF
	v_mul_lo_u32 v32, s71, v32                                 // 000000011188: D2850020 00024047
	v_add_u32_e32 v32, v4, v32                                 // 000000011190: 68404104
	v_add_u32_e32 v32, s60, v32                                // 000000011194: 6840403C
	v_lshrrev_b32_e32 v4, 24, v33                              // 000000011198: 20084298
	v_mul_lo_u32 v4, s61, v4                                   // 00000001119C: D2850004 0002083D
	v_and_b32_e32 v33, 0xffffff, v33                           // 0000000111A4: 264242FF 00FFFFFF
	v_mul_lo_u32 v33, s71, v33                                 // 0000000111AC: D2850021 00024247
	v_add_u32_e32 v33, v4, v33                                 // 0000000111B4: 68424304
	v_add_u32_e32 v33, s60, v33                                // 0000000111B8: 6842423C
	s_mov_b64 exec, 0xffff                                     // 0000000111BC: BEFE01FF 0000FFFF
	buffer_store_dword v124, v30, s[8:11], 0 offen             // 0000000111C4: E0701000 80027C1E
	buffer_store_dword v128, v30, s[8:11], 0 offen offset:4    // 0000000111CC: E0701004 8002801E
	buffer_store_dword v125, v31, s[8:11], 0 offen             // 0000000111D4: E0701000 80027D1F
	buffer_store_dword v129, v31, s[8:11], 0 offen offset:4    // 0000000111DC: E0701004 8002811F
	buffer_store_dword v126, v32, s[8:11], 0 offen             // 0000000111E4: E0701000 80027E20
	buffer_store_dword v130, v32, s[8:11], 0 offen offset:4    // 0000000111EC: E0701004 80028220
	buffer_store_dword v127, v33, s[8:11], 0 offen             // 0000000111F4: E0701000 80027F21
	buffer_store_dword v131, v33, s[8:11], 0 offen offset:4    // 0000000111FC: E0701004 80028321
	s_mov_b64 exec, s[36:37]                                   // 000000011204: BEFE0124
	s_branch label_3F60                                        // 000000011208: BF82055A

000000000001120c <label_3A06>:
	ds_write_b64 v20, v[60:61]                                 // 00000001120C: D89A0000 00003C14
	ds_write_b64 v20, v[64:65] offset:8704                     // 000000011214: D89A2200 00004014
	ds_write_b64 v20, v[68:69] offset:17408                    // 00000001121C: D89A4400 00004414
	ds_write_b64 v20, v[72:73] offset:26112                    // 000000011224: D89A6600 00004814
	ds_write_b64 v20, v[76:77] offset:2176                     // 00000001122C: D89A0880 00004C14
	ds_write_b64 v20, v[80:81] offset:10880                    // 000000011234: D89A2A80 00005014
	ds_write_b64 v20, v[84:85] offset:19584                    // 00000001123C: D89A4C80 00005414
	ds_write_b64 v20, v[88:89] offset:28288                    // 000000011244: D89A6E80 00005814
	ds_write_b64 v20, v[92:93] offset:4352                     // 00000001124C: D89A1100 00005C14
	ds_write_b64 v20, v[96:97] offset:13056                    // 000000011254: D89A3300 00006014
	ds_write_b64 v20, v[100:101] offset:21760                  // 00000001125C: D89A5500 00006414
	ds_write_b64 v20, v[104:105] offset:30464                  // 000000011264: D89A7700 00006814
	ds_write_b64 v20, v[108:109] offset:6528                   // 00000001126C: D89A1980 00006C14
	ds_write_b64 v20, v[112:113] offset:15232                  // 000000011274: D89A3B80 00007014
	ds_write_b64 v20, v[116:117] offset:23936                  // 00000001127C: D89A5D80 00007414
	ds_write_b64 v20, v[120:121] offset:32640                  // 000000011284: D89A7F80 00007814
	v_lshrrev_b32_e32 v4, 5, v0                                // 00000001128C: 20080085
	v_xor_b32_e32 v5, 1, v4                                    // 000000011290: 2A0A0881
	s_mul_i32 s60, s65, 1                                      // 000000011294: 923C8141
	s_cmp_eq_u32 s88, 0                                        // 000000011298: BF068058
	s_cselect_b32 s61, 1, 8                                    // 00000001129C: 853D8881
	s_mul_i32 s60, s61, s60                                    // 0000000112A0: 923C3C3D
	v_readlane_b32 s82, v3, 0                                  // 0000000112A4: D2890052 00010103
	s_lshr_b32 s61, s82, 24                                    // 0000000112AC: 8F3D9852
	s_and_b32 s82, s82, 0xffffff                               // 0000000112B0: 8652FF52 00FFFFFF
	s_mul_i32 s82, s82, s71                                    // 0000000112B8: 92524752
	s_mul_i32 s61, s60, s61                                    // 0000000112BC: 923D3D3C
	s_add_u32 s82, s82, s61                                    // 0000000112C0: 80523D52
	v_mul_lo_u32 v6, v5, s82                                   // 0000000112C4: D2850006 0000A505
	v_readlane_b32 s82, v3, 1                                  // 0000000112CC: D2890052 00010303
	s_lshr_b32 s61, s82, 24                                    // 0000000112D4: 8F3D9852
	s_and_b32 s82, s82, 0xffffff                               // 0000000112D8: 8652FF52 00FFFFFF
	s_mul_i32 s82, s82, s71                                    // 0000000112E0: 92524752
	s_mul_i32 s61, s60, s61                                    // 0000000112E4: 923D3D3C
	s_add_u32 s82, s82, s61                                    // 0000000112E8: 80523D52
	v_mul_lo_u32 v7, v4, s82                                   // 0000000112EC: D2850007 0000A504
	v_add_u32_e32 v46, v6, v7                                  // 0000000112F4: 685C0F06
	v_readlane_b32 s82, v3, 2                                  // 0000000112F8: D2890052 00010503
	s_lshr_b32 s61, s82, 24                                    // 000000011300: 8F3D9852
	s_and_b32 s82, s82, 0xffffff                               // 000000011304: 8652FF52 00FFFFFF
	s_mul_i32 s82, s82, s71                                    // 00000001130C: 92524752
	s_mul_i32 s61, s60, s61                                    // 000000011310: 923D3D3C
	s_add_u32 s82, s82, s61                                    // 000000011314: 80523D52
	v_mul_lo_u32 v6, v5, s82                                   // 000000011318: D2850006 0000A505
	v_readlane_b32 s82, v3, 3                                  // 000000011320: D2890052 00010703
	s_lshr_b32 s61, s82, 24                                    // 000000011328: 8F3D9852
	s_and_b32 s82, s82, 0xffffff                               // 00000001132C: 8652FF52 00FFFFFF
	s_mul_i32 s82, s82, s71                                    // 000000011334: 92524752
	s_mul_i32 s61, s60, s61                                    // 000000011338: 923D3D3C
	s_add_u32 s82, s82, s61                                    // 00000001133C: 80523D52
	v_mul_lo_u32 v7, v4, s82                                   // 000000011340: D2850007 0000A504
	v_add_u32_e32 v47, v6, v7                                  // 000000011348: 685E0F06
	v_readlane_b32 s82, v3, 4                                  // 00000001134C: D2890052 00010903
	s_lshr_b32 s61, s82, 24                                    // 000000011354: 8F3D9852
	s_and_b32 s82, s82, 0xffffff                               // 000000011358: 8652FF52 00FFFFFF
	s_mul_i32 s82, s82, s71                                    // 000000011360: 92524752
	s_mul_i32 s61, s60, s61                                    // 000000011364: 923D3D3C
	s_add_u32 s82, s82, s61                                    // 000000011368: 80523D52
	v_mul_lo_u32 v6, v5, s82                                   // 00000001136C: D2850006 0000A505
	v_readlane_b32 s82, v3, 5                                  // 000000011374: D2890052 00010B03
	s_lshr_b32 s61, s82, 24                                    // 00000001137C: 8F3D9852
	s_and_b32 s82, s82, 0xffffff                               // 000000011380: 8652FF52 00FFFFFF
	s_mul_i32 s82, s82, s71                                    // 000000011388: 92524752
	s_mul_i32 s61, s60, s61                                    // 00000001138C: 923D3D3C
	s_add_u32 s82, s82, s61                                    // 000000011390: 80523D52
	v_mul_lo_u32 v7, v4, s82                                   // 000000011394: D2850007 0000A504
	v_add_u32_e32 v48, v6, v7                                  // 00000001139C: 68600F06
	v_readlane_b32 s82, v3, 6                                  // 0000000113A0: D2890052 00010D03
	s_lshr_b32 s61, s82, 24                                    // 0000000113A8: 8F3D9852
	s_and_b32 s82, s82, 0xffffff                               // 0000000113AC: 8652FF52 00FFFFFF
	s_mul_i32 s82, s82, s71                                    // 0000000113B4: 92524752
	s_mul_i32 s61, s60, s61                                    // 0000000113B8: 923D3D3C
	s_add_u32 s82, s82, s61                                    // 0000000113BC: 80523D52
	v_mul_lo_u32 v6, v5, s82                                   // 0000000113C0: D2850006 0000A505
	v_readlane_b32 s82, v3, 7                                  // 0000000113C8: D2890052 00010F03
	s_lshr_b32 s61, s82, 24                                    // 0000000113D0: 8F3D9852
	s_and_b32 s82, s82, 0xffffff                               // 0000000113D4: 8652FF52 00FFFFFF
	s_mul_i32 s82, s82, s71                                    // 0000000113DC: 92524752
	s_mul_i32 s61, s60, s61                                    // 0000000113E0: 923D3D3C
	s_add_u32 s82, s82, s61                                    // 0000000113E4: 80523D52
	v_mul_lo_u32 v7, v4, s82                                   // 0000000113E8: D2850007 0000A504
	v_add_u32_e32 v49, v6, v7                                  // 0000000113F0: 68620F06
	v_readlane_b32 s82, v3, 8                                  // 0000000113F4: D2890052 00011103
	s_lshr_b32 s61, s82, 24                                    // 0000000113FC: 8F3D9852
	s_and_b32 s82, s82, 0xffffff                               // 000000011400: 8652FF52 00FFFFFF
	s_mul_i32 s82, s82, s71                                    // 000000011408: 92524752
	s_mul_i32 s61, s60, s61                                    // 00000001140C: 923D3D3C
	s_add_u32 s82, s82, s61                                    // 000000011410: 80523D52
	v_mul_lo_u32 v6, v5, s82                                   // 000000011414: D2850006 0000A505
	v_readlane_b32 s82, v3, 9                                  // 00000001141C: D2890052 00011303
	s_lshr_b32 s61, s82, 24                                    // 000000011424: 8F3D9852
	s_and_b32 s82, s82, 0xffffff                               // 000000011428: 8652FF52 00FFFFFF
	s_mul_i32 s82, s82, s71                                    // 000000011430: 92524752
	s_mul_i32 s61, s60, s61                                    // 000000011434: 923D3D3C
	s_add_u32 s82, s82, s61                                    // 000000011438: 80523D52
	v_mul_lo_u32 v7, v4, s82                                   // 00000001143C: D2850007 0000A504
	v_add_u32_e32 v50, v6, v7                                  // 000000011444: 68640F06
	v_readlane_b32 s82, v3, 10                                 // 000000011448: D2890052 00011503
	s_lshr_b32 s61, s82, 24                                    // 000000011450: 8F3D9852
	s_and_b32 s82, s82, 0xffffff                               // 000000011454: 8652FF52 00FFFFFF
	s_mul_i32 s82, s82, s71                                    // 00000001145C: 92524752
	s_mul_i32 s61, s60, s61                                    // 000000011460: 923D3D3C
	s_add_u32 s82, s82, s61                                    // 000000011464: 80523D52
	v_mul_lo_u32 v6, v5, s82                                   // 000000011468: D2850006 0000A505
	v_readlane_b32 s82, v3, 11                                 // 000000011470: D2890052 00011703
	s_lshr_b32 s61, s82, 24                                    // 000000011478: 8F3D9852
	s_and_b32 s82, s82, 0xffffff                               // 00000001147C: 8652FF52 00FFFFFF
	s_mul_i32 s82, s82, s71                                    // 000000011484: 92524752
	s_mul_i32 s61, s60, s61                                    // 000000011488: 923D3D3C
	s_add_u32 s82, s82, s61                                    // 00000001148C: 80523D52
	v_mul_lo_u32 v7, v4, s82                                   // 000000011490: D2850007 0000A504
	v_add_u32_e32 v51, v6, v7                                  // 000000011498: 68660F06
	v_readlane_b32 s82, v3, 12                                 // 00000001149C: D2890052 00011903
	s_lshr_b32 s61, s82, 24                                    // 0000000114A4: 8F3D9852
	s_and_b32 s82, s82, 0xffffff                               // 0000000114A8: 8652FF52 00FFFFFF
	s_mul_i32 s82, s82, s71                                    // 0000000114B0: 92524752
	s_mul_i32 s61, s60, s61                                    // 0000000114B4: 923D3D3C
	s_add_u32 s82, s82, s61                                    // 0000000114B8: 80523D52
	v_mul_lo_u32 v6, v5, s82                                   // 0000000114BC: D2850006 0000A505
	v_readlane_b32 s82, v3, 13                                 // 0000000114C4: D2890052 00011B03
	s_lshr_b32 s61, s82, 24                                    // 0000000114CC: 8F3D9852
	s_and_b32 s82, s82, 0xffffff                               // 0000000114D0: 8652FF52 00FFFFFF
	s_mul_i32 s82, s82, s71                                    // 0000000114D8: 92524752
	s_mul_i32 s61, s60, s61                                    // 0000000114DC: 923D3D3C
	s_add_u32 s82, s82, s61                                    // 0000000114E0: 80523D52
	v_mul_lo_u32 v7, v4, s82                                   // 0000000114E4: D2850007 0000A504
	v_add_u32_e32 v52, v6, v7                                  // 0000000114EC: 68680F06
	v_readlane_b32 s82, v3, 14                                 // 0000000114F0: D2890052 00011D03
	s_lshr_b32 s61, s82, 24                                    // 0000000114F8: 8F3D9852
	s_and_b32 s82, s82, 0xffffff                               // 0000000114FC: 8652FF52 00FFFFFF
	s_mul_i32 s82, s82, s71                                    // 000000011504: 92524752
	s_mul_i32 s61, s60, s61                                    // 000000011508: 923D3D3C
	s_add_u32 s82, s82, s61                                    // 00000001150C: 80523D52
	v_mul_lo_u32 v6, v5, s82                                   // 000000011510: D2850006 0000A505
	v_readlane_b32 s82, v3, 15                                 // 000000011518: D2890052 00011F03
	s_lshr_b32 s61, s82, 24                                    // 000000011520: 8F3D9852
	s_and_b32 s82, s82, 0xffffff                               // 000000011524: 8652FF52 00FFFFFF
	s_mul_i32 s82, s82, s71                                    // 00000001152C: 92524752
	s_mul_i32 s61, s60, s61                                    // 000000011530: 923D3D3C
	s_add_u32 s82, s82, s61                                    // 000000011534: 80523D52
	v_mul_lo_u32 v7, v4, s82                                   // 000000011538: D2850007 0000A504
	v_add_u32_e32 v53, v6, v7                                  // 000000011540: 686A0F06
	v_and_b32_e32 v4, 31, v0                                   // 000000011544: 2608009F
	v_lshrrev_b32_e32 v4, 1, v4                                // 000000011548: 20080881
	s_cmp_eq_u32 s88, 0                                        // 00000001154C: BF068058
	s_cselect_b32 s61, 2, 4                                    // 000000011550: 853D8482
	v_mul_lo_u32 v4, v4, s61                                   // 000000011554: D2850004 00007B04
	v_and_b32_e64 v5, v0, 1                                    // 00000001155C: D1130005 00010300
	v_add_u32_e32 v4, v4, v5                                   // 000000011564: 68080B04
	v_lshlrev_b32_e32 v4, 2, v4                                // 000000011568: 24080882
	v_add_u32_e32 v46, v46, v4                                 // 00000001156C: 685C092E
	v_add_u32_e32 v47, v47, v4                                 // 000000011570: 685E092F
	v_add_u32_e32 v48, v48, v4                                 // 000000011574: 68600930
	v_add_u32_e32 v49, v49, v4                                 // 000000011578: 68620931
	v_add_u32_e32 v50, v50, v4                                 // 00000001157C: 68640932
	v_add_u32_e32 v51, v51, v4                                 // 000000011580: 68660933
	v_add_u32_e32 v52, v52, v4                                 // 000000011584: 68680934
	v_add_u32_e32 v53, v53, v4                                 // 000000011588: 686A0935
	s_waitcnt lgkmcnt(0)                                       // 00000001158C: BF8CC07F
	s_barrier                                                  // 000000011590: BF8A0000
	ds_read_b32 v60, v21                                       // 000000011594: D86C0000 3C000015
	ds_read_b32 v61, v21 offset:64                             // 00000001159C: D86C0040 3D000015
	ds_read_b32 v64, v21 offset:2176                           // 0000000115A4: D86C0880 40000015
	ds_read_b32 v65, v21 offset:2240                           // 0000000115AC: D86C08C0 41000015
	ds_read_b32 v68, v21 offset:4352                           // 0000000115B4: D86C1100 44000015
	ds_read_b32 v69, v21 offset:4416                           // 0000000115BC: D86C1140 45000015
	ds_read_b32 v72, v21 offset:6528                           // 0000000115C4: D86C1980 48000015
	ds_read_b32 v73, v21 offset:6592                           // 0000000115CC: D86C19C0 49000015
	ds_read_b32 v76, v21 offset:8704                           // 0000000115D4: D86C2200 4C000015
	ds_read_b32 v77, v21 offset:8768                           // 0000000115DC: D86C2240 4D000015
	ds_read_b32 v80, v21 offset:10880                          // 0000000115E4: D86C2A80 50000015
	ds_read_b32 v81, v21 offset:10944                          // 0000000115EC: D86C2AC0 51000015
	ds_read_b32 v84, v21 offset:13056                          // 0000000115F4: D86C3300 54000015
	ds_read_b32 v85, v21 offset:13120                          // 0000000115FC: D86C3340 55000015
	ds_read_b32 v88, v21 offset:15232                          // 000000011604: D86C3B80 58000015
	ds_read_b32 v89, v21 offset:15296                          // 00000001160C: D86C3BC0 59000015
	ds_read_b32 v92, v21 offset:17408                          // 000000011614: D86C4400 5C000015
	ds_read_b32 v93, v21 offset:17472                          // 00000001161C: D86C4440 5D000015
	ds_read_b32 v96, v21 offset:19584                          // 000000011624: D86C4C80 60000015
	ds_read_b32 v97, v21 offset:19648                          // 00000001162C: D86C4CC0 61000015
	ds_read_b32 v100, v21 offset:21760                         // 000000011634: D86C5500 64000015
	ds_read_b32 v101, v21 offset:21824                         // 00000001163C: D86C5540 65000015
	ds_read_b32 v104, v21 offset:23936                         // 000000011644: D86C5D80 68000015
	ds_read_b32 v105, v21 offset:24000                         // 00000001164C: D86C5DC0 69000015
	ds_read_b32 v108, v21 offset:26112                         // 000000011654: D86C6600 6C000015
	ds_read_b32 v109, v21 offset:26176                         // 00000001165C: D86C6640 6D000015
	ds_read_b32 v112, v21 offset:28288                         // 000000011664: D86C6E80 70000015
	ds_read_b32 v113, v21 offset:28352                         // 00000001166C: D86C6EC0 71000015
	ds_read_b32 v116, v21 offset:30464                         // 000000011674: D86C7700 74000015
	ds_read_b32 v117, v21 offset:30528                         // 00000001167C: D86C7740 75000015
	ds_read_b32 v120, v21 offset:32640                         // 000000011684: D86C7F80 78000015
	ds_read_b32 v121, v21 offset:32704                         // 00000001168C: D86C7FC0 79000015
	s_waitcnt lgkmcnt(0)                                       // 000000011694: BF8CC07F
	s_mov_b32 s36, -1                                          // 000000011698: BEA400C1
	s_mov_b32 s37, -1                                          // 00000001169C: BEA500C1
	v_mov_b32_e32 v7, 0                                        // 0000000116A0: 7E0E0280
	s_mov_b64 exec, s[36:37]                                   // 0000000116A4: BEFE0124
	v_mov_b32_e32 v6, v46                                      // 0000000116A8: 7E0C032E
	s_mov_b64 s[60:61], 0                                      // 0000000116AC: BEBC0180
	v_readlane_b32 s82, v3, 0                                  // 0000000116B0: D2890052 00010103
	s_and_b32 s82, s82, 0xffffff                               // 0000000116B8: 8652FF52 00FFFFFF
	s_cmp_lt_u32 s82, s66                                      // 0000000116C0: BF0A4252
	s_cselect_b32 s20, s36, s60                                // 0000000116C4: 85143C24
	v_readlane_b32 s82, v3, 1                                  // 0000000116C8: D2890052 00010303
	s_and_b32 s82, s82, 0xffffff                               // 0000000116D0: 8652FF52 00FFFFFF
	s_cmp_lt_u32 s82, s66                                      // 0000000116D8: BF0A4252
	s_cselect_b32 s21, s36, s60                                // 0000000116DC: 85153C24
	s_mov_b64 exec, s[20:21]                                   // 0000000116E0: BEFE0114
	global_atomic_add_f32 v6, v60, s[8:9]                      // 0000000116E4: DD348000 00083C06
	global_atomic_add_f32 v6, v64, s[8:9] offset:256           // 0000000116EC: DD348100 00084006
	global_atomic_add_f32 v6, v68, s[8:9] offset:512           // 0000000116F4: DD348200 00084406
	global_atomic_add_f32 v6, v72, s[8:9] offset:768           // 0000000116FC: DD348300 00084806
	s_mov_b64 exec, s[36:37]                                   // 000000011704: BEFE0124
	v_mov_b32_e32 v6, v47                                      // 000000011708: 7E0C032F
	s_mov_b64 s[60:61], 0                                      // 00000001170C: BEBC0180
	v_readlane_b32 s82, v3, 2                                  // 000000011710: D2890052 00010503
	s_and_b32 s82, s82, 0xffffff                               // 000000011718: 8652FF52 00FFFFFF
	s_cmp_lt_u32 s82, s66                                      // 000000011720: BF0A4252
	s_cselect_b32 s20, s36, s60                                // 000000011724: 85143C24
	v_readlane_b32 s82, v3, 3                                  // 000000011728: D2890052 00010703
	s_and_b32 s82, s82, 0xffffff                               // 000000011730: 8652FF52 00FFFFFF
	s_cmp_lt_u32 s82, s66                                      // 000000011738: BF0A4252
	s_cselect_b32 s21, s36, s60                                // 00000001173C: 85153C24
	s_mov_b64 exec, s[20:21]                                   // 000000011740: BEFE0114
	global_atomic_add_f32 v6, v61, s[8:9]                      // 000000011744: DD348000 00083D06
	global_atomic_add_f32 v6, v65, s[8:9] offset:256           // 00000001174C: DD348100 00084106
	global_atomic_add_f32 v6, v69, s[8:9] offset:512           // 000000011754: DD348200 00084506
	global_atomic_add_f32 v6, v73, s[8:9] offset:768           // 00000001175C: DD348300 00084906
	s_mov_b64 exec, s[36:37]                                   // 000000011764: BEFE0124
	v_mov_b32_e32 v6, v48                                      // 000000011768: 7E0C0330
	s_mov_b64 s[60:61], 0                                      // 00000001176C: BEBC0180
	v_readlane_b32 s82, v3, 4                                  // 000000011770: D2890052 00010903
	s_and_b32 s82, s82, 0xffffff                               // 000000011778: 8652FF52 00FFFFFF
	s_cmp_lt_u32 s82, s66                                      // 000000011780: BF0A4252
	s_cselect_b32 s20, s36, s60                                // 000000011784: 85143C24
	v_readlane_b32 s82, v3, 5                                  // 000000011788: D2890052 00010B03
	s_and_b32 s82, s82, 0xffffff                               // 000000011790: 8652FF52 00FFFFFF
	s_cmp_lt_u32 s82, s66                                      // 000000011798: BF0A4252
	s_cselect_b32 s21, s36, s60                                // 00000001179C: 85153C24
	s_mov_b64 exec, s[20:21]                                   // 0000000117A0: BEFE0114
	global_atomic_add_f32 v6, v76, s[8:9]                      // 0000000117A4: DD348000 00084C06
	global_atomic_add_f32 v6, v80, s[8:9] offset:256           // 0000000117AC: DD348100 00085006
	global_atomic_add_f32 v6, v84, s[8:9] offset:512           // 0000000117B4: DD348200 00085406
	global_atomic_add_f32 v6, v88, s[8:9] offset:768           // 0000000117BC: DD348300 00085806
	s_mov_b64 exec, s[36:37]                                   // 0000000117C4: BEFE0124
	v_mov_b32_e32 v6, v49                                      // 0000000117C8: 7E0C0331
	s_mov_b64 s[60:61], 0                                      // 0000000117CC: BEBC0180
	v_readlane_b32 s82, v3, 6                                  // 0000000117D0: D2890052 00010D03
	s_and_b32 s82, s82, 0xffffff                               // 0000000117D8: 8652FF52 00FFFFFF
	s_cmp_lt_u32 s82, s66                                      // 0000000117E0: BF0A4252
	s_cselect_b32 s20, s36, s60                                // 0000000117E4: 85143C24
	v_readlane_b32 s82, v3, 7                                  // 0000000117E8: D2890052 00010F03
	s_and_b32 s82, s82, 0xffffff                               // 0000000117F0: 8652FF52 00FFFFFF
	s_cmp_lt_u32 s82, s66                                      // 0000000117F8: BF0A4252
	s_cselect_b32 s21, s36, s60                                // 0000000117FC: 85153C24
	s_mov_b64 exec, s[20:21]                                   // 000000011800: BEFE0114
	global_atomic_add_f32 v6, v77, s[8:9]                      // 000000011804: DD348000 00084D06
	global_atomic_add_f32 v6, v81, s[8:9] offset:256           // 00000001180C: DD348100 00085106
	global_atomic_add_f32 v6, v85, s[8:9] offset:512           // 000000011814: DD348200 00085506
	global_atomic_add_f32 v6, v89, s[8:9] offset:768           // 00000001181C: DD348300 00085906
	s_mov_b64 exec, s[36:37]                                   // 000000011824: BEFE0124
	v_mov_b32_e32 v6, v50                                      // 000000011828: 7E0C0332
	s_mov_b64 s[60:61], 0                                      // 00000001182C: BEBC0180
	v_readlane_b32 s82, v3, 8                                  // 000000011830: D2890052 00011103
	s_and_b32 s82, s82, 0xffffff                               // 000000011838: 8652FF52 00FFFFFF
	s_cmp_lt_u32 s82, s66                                      // 000000011840: BF0A4252
	s_cselect_b32 s20, s36, s60                                // 000000011844: 85143C24
	v_readlane_b32 s82, v3, 9                                  // 000000011848: D2890052 00011303
	s_and_b32 s82, s82, 0xffffff                               // 000000011850: 8652FF52 00FFFFFF
	s_cmp_lt_u32 s82, s66                                      // 000000011858: BF0A4252
	s_cselect_b32 s21, s36, s60                                // 00000001185C: 85153C24
	s_mov_b64 exec, s[20:21]                                   // 000000011860: BEFE0114
	global_atomic_add_f32 v6, v92, s[8:9]                      // 000000011864: DD348000 00085C06
	global_atomic_add_f32 v6, v96, s[8:9] offset:256           // 00000001186C: DD348100 00086006
	global_atomic_add_f32 v6, v100, s[8:9] offset:512          // 000000011874: DD348200 00086406
	global_atomic_add_f32 v6, v104, s[8:9] offset:768          // 00000001187C: DD348300 00086806
	s_mov_b64 exec, s[36:37]                                   // 000000011884: BEFE0124
	v_mov_b32_e32 v6, v51                                      // 000000011888: 7E0C0333
	s_mov_b64 s[60:61], 0                                      // 00000001188C: BEBC0180
	v_readlane_b32 s82, v3, 10                                 // 000000011890: D2890052 00011503
	s_and_b32 s82, s82, 0xffffff                               // 000000011898: 8652FF52 00FFFFFF
	s_cmp_lt_u32 s82, s66                                      // 0000000118A0: BF0A4252
	s_cselect_b32 s20, s36, s60                                // 0000000118A4: 85143C24
	v_readlane_b32 s82, v3, 11                                 // 0000000118A8: D2890052 00011703
	s_and_b32 s82, s82, 0xffffff                               // 0000000118B0: 8652FF52 00FFFFFF
	s_cmp_lt_u32 s82, s66                                      // 0000000118B8: BF0A4252
	s_cselect_b32 s21, s36, s60                                // 0000000118BC: 85153C24
	s_mov_b64 exec, s[20:21]                                   // 0000000118C0: BEFE0114
	global_atomic_add_f32 v6, v93, s[8:9]                      // 0000000118C4: DD348000 00085D06
	global_atomic_add_f32 v6, v97, s[8:9] offset:256           // 0000000118CC: DD348100 00086106
	global_atomic_add_f32 v6, v101, s[8:9] offset:512          // 0000000118D4: DD348200 00086506
	global_atomic_add_f32 v6, v105, s[8:9] offset:768          // 0000000118DC: DD348300 00086906
	s_mov_b64 exec, s[36:37]                                   // 0000000118E4: BEFE0124
	v_mov_b32_e32 v6, v52                                      // 0000000118E8: 7E0C0334
	s_mov_b64 s[60:61], 0                                      // 0000000118EC: BEBC0180
	v_readlane_b32 s82, v3, 12                                 // 0000000118F0: D2890052 00011903
	s_and_b32 s82, s82, 0xffffff                               // 0000000118F8: 8652FF52 00FFFFFF
	s_cmp_lt_u32 s82, s66                                      // 000000011900: BF0A4252
	s_cselect_b32 s20, s36, s60                                // 000000011904: 85143C24
	v_readlane_b32 s82, v3, 13                                 // 000000011908: D2890052 00011B03
	s_and_b32 s82, s82, 0xffffff                               // 000000011910: 8652FF52 00FFFFFF
	s_cmp_lt_u32 s82, s66                                      // 000000011918: BF0A4252
	s_cselect_b32 s21, s36, s60                                // 00000001191C: 85153C24
	s_mov_b64 exec, s[20:21]                                   // 000000011920: BEFE0114
	global_atomic_add_f32 v6, v108, s[8:9]                     // 000000011924: DD348000 00086C06
	global_atomic_add_f32 v6, v112, s[8:9] offset:256          // 00000001192C: DD348100 00087006
	global_atomic_add_f32 v6, v116, s[8:9] offset:512          // 000000011934: DD348200 00087406
	global_atomic_add_f32 v6, v120, s[8:9] offset:768          // 00000001193C: DD348300 00087806
	s_mov_b64 exec, s[36:37]                                   // 000000011944: BEFE0124
	v_mov_b32_e32 v6, v53                                      // 000000011948: 7E0C0335
	s_mov_b64 s[60:61], 0                                      // 00000001194C: BEBC0180
	v_readlane_b32 s82, v3, 14                                 // 000000011950: D2890052 00011D03
	s_and_b32 s82, s82, 0xffffff                               // 000000011958: 8652FF52 00FFFFFF
	s_cmp_lt_u32 s82, s66                                      // 000000011960: BF0A4252
	s_cselect_b32 s20, s36, s60                                // 000000011964: 85143C24
	v_readlane_b32 s82, v3, 15                                 // 000000011968: D2890052 00011F03
	s_and_b32 s82, s82, 0xffffff                               // 000000011970: 8652FF52 00FFFFFF
	s_cmp_lt_u32 s82, s66                                      // 000000011978: BF0A4252
	s_cselect_b32 s21, s36, s60                                // 00000001197C: 85153C24
	s_mov_b64 exec, s[20:21]                                   // 000000011980: BEFE0114
	global_atomic_add_f32 v6, v109, s[8:9]                     // 000000011984: DD348000 00086D06
	global_atomic_add_f32 v6, v113, s[8:9] offset:256          // 00000001198C: DD348100 00087106
	global_atomic_add_f32 v6, v117, s[8:9] offset:512          // 000000011994: DD348200 00087506
	global_atomic_add_f32 v6, v121, s[8:9] offset:768          // 00000001199C: DD348300 00087906
	s_mov_b64 exec, s[36:37]                                   // 0000000119A4: BEFE0124
	ds_write_b64 v20, v[62:63]                                 // 0000000119A8: D89A0000 00003E14
	ds_write_b64 v20, v[66:67] offset:8704                     // 0000000119B0: D89A2200 00004214
	ds_write_b64 v20, v[70:71] offset:17408                    // 0000000119B8: D89A4400 00004614
	ds_write_b64 v20, v[74:75] offset:26112                    // 0000000119C0: D89A6600 00004A14
	ds_write_b64 v20, v[78:79] offset:2176                     // 0000000119C8: D89A0880 00004E14
	ds_write_b64 v20, v[82:83] offset:10880                    // 0000000119D0: D89A2A80 00005214
	ds_write_b64 v20, v[86:87] offset:19584                    // 0000000119D8: D89A4C80 00005614
	ds_write_b64 v20, v[90:91] offset:28288                    // 0000000119E0: D89A6E80 00005A14
	ds_write_b64 v20, v[94:95] offset:4352                     // 0000000119E8: D89A1100 00005E14
	ds_write_b64 v20, v[98:99] offset:13056                    // 0000000119F0: D89A3300 00006214
	ds_write_b64 v20, v[102:103] offset:21760                  // 0000000119F8: D89A5500 00006614
	ds_write_b64 v20, v[106:107] offset:30464                  // 000000011A00: D89A7700 00006A14
	ds_write_b64 v20, v[110:111] offset:6528                   // 000000011A08: D89A1980 00006E14
	ds_write_b64 v20, v[114:115] offset:15232                  // 000000011A10: D89A3B80 00007214
	ds_write_b64 v20, v[118:119] offset:23936                  // 000000011A18: D89A5D80 00007614
	ds_write_b64 v20, v[122:123] offset:32640                  // 000000011A20: D89A7F80 00007A14
	s_waitcnt lgkmcnt(0)                                       // 000000011A28: BF8CC07F
	s_barrier                                                  // 000000011A2C: BF8A0000
	ds_read_b32 v62, v21                                       // 000000011A30: D86C0000 3E000015
	ds_read_b32 v63, v21 offset:64                             // 000000011A38: D86C0040 3F000015
	ds_read_b32 v66, v21 offset:2176                           // 000000011A40: D86C0880 42000015
	ds_read_b32 v67, v21 offset:2240                           // 000000011A48: D86C08C0 43000015
	ds_read_b32 v70, v21 offset:4352                           // 000000011A50: D86C1100 46000015
	ds_read_b32 v71, v21 offset:4416                           // 000000011A58: D86C1140 47000015
	ds_read_b32 v74, v21 offset:6528                           // 000000011A60: D86C1980 4A000015
	ds_read_b32 v75, v21 offset:6592                           // 000000011A68: D86C19C0 4B000015
	ds_read_b32 v78, v21 offset:8704                           // 000000011A70: D86C2200 4E000015
	ds_read_b32 v79, v21 offset:8768                           // 000000011A78: D86C2240 4F000015
	ds_read_b32 v82, v21 offset:10880                          // 000000011A80: D86C2A80 52000015
	ds_read_b32 v83, v21 offset:10944                          // 000000011A88: D86C2AC0 53000015
	ds_read_b32 v86, v21 offset:13056                          // 000000011A90: D86C3300 56000015
	ds_read_b32 v87, v21 offset:13120                          // 000000011A98: D86C3340 57000015
	ds_read_b32 v90, v21 offset:15232                          // 000000011AA0: D86C3B80 5A000015
	ds_read_b32 v91, v21 offset:15296                          // 000000011AA8: D86C3BC0 5B000015
	ds_read_b32 v94, v21 offset:17408                          // 000000011AB0: D86C4400 5E000015
	ds_read_b32 v95, v21 offset:17472                          // 000000011AB8: D86C4440 5F000015
	ds_read_b32 v98, v21 offset:19584                          // 000000011AC0: D86C4C80 62000015
	ds_read_b32 v99, v21 offset:19648                          // 000000011AC8: D86C4CC0 63000015
	ds_read_b32 v102, v21 offset:21760                         // 000000011AD0: D86C5500 66000015
	ds_read_b32 v103, v21 offset:21824                         // 000000011AD8: D86C5540 67000015
	ds_read_b32 v106, v21 offset:23936                         // 000000011AE0: D86C5D80 6A000015
	ds_read_b32 v107, v21 offset:24000                         // 000000011AE8: D86C5DC0 6B000015
	ds_read_b32 v110, v21 offset:26112                         // 000000011AF0: D86C6600 6E000015
	ds_read_b32 v111, v21 offset:26176                         // 000000011AF8: D86C6640 6F000015
	ds_read_b32 v114, v21 offset:28288                         // 000000011B00: D86C6E80 72000015
	ds_read_b32 v115, v21 offset:28352                         // 000000011B08: D86C6EC0 73000015
	ds_read_b32 v118, v21 offset:30464                         // 000000011B10: D86C7700 76000015
	ds_read_b32 v119, v21 offset:30528                         // 000000011B18: D86C7740 77000015
	ds_read_b32 v122, v21 offset:32640                         // 000000011B20: D86C7F80 7A000015
	ds_read_b32 v123, v21 offset:32704                         // 000000011B28: D86C7FC0 7B000015
	s_waitcnt lgkmcnt(0)                                       // 000000011B30: BF8CC07F
	v_mov_b32_e32 v7, 0                                        // 000000011B34: 7E0E0280
	s_mov_b64 exec, s[36:37]                                   // 000000011B38: BEFE0124
	v_mov_b32_e32 v6, v46                                      // 000000011B3C: 7E0C032E
	s_mov_b64 s[60:61], 0                                      // 000000011B40: BEBC0180
	v_readlane_b32 s82, v3, 0                                  // 000000011B44: D2890052 00010103
	s_and_b32 s82, s82, 0xffffff                               // 000000011B4C: 8652FF52 00FFFFFF
	s_cmp_lt_u32 s82, s66                                      // 000000011B54: BF0A4252
	s_cselect_b32 s20, s36, s60                                // 000000011B58: 85143C24
	v_readlane_b32 s82, v3, 1                                  // 000000011B5C: D2890052 00010303
	s_and_b32 s82, s82, 0xffffff                               // 000000011B64: 8652FF52 00FFFFFF
	s_cmp_lt_u32 s82, s66                                      // 000000011B6C: BF0A4252
	s_cselect_b32 s21, s36, s60                                // 000000011B70: 85153C24
	s_mov_b64 exec, s[20:21]                                   // 000000011B74: BEFE0114
	global_atomic_add_f32 v6, v62, s[8:9] offset:8             // 000000011B78: DD348008 00083E06
	global_atomic_add_f32 v6, v66, s[8:9] offset:264           // 000000011B80: DD348108 00084206
	global_atomic_add_f32 v6, v70, s[8:9] offset:520           // 000000011B88: DD348208 00084606
	global_atomic_add_f32 v6, v74, s[8:9] offset:776           // 000000011B90: DD348308 00084A06
	s_mov_b64 exec, s[36:37]                                   // 000000011B98: BEFE0124
	v_mov_b32_e32 v6, v47                                      // 000000011B9C: 7E0C032F
	s_mov_b64 s[60:61], 0                                      // 000000011BA0: BEBC0180
	v_readlane_b32 s82, v3, 2                                  // 000000011BA4: D2890052 00010503
	s_and_b32 s82, s82, 0xffffff                               // 000000011BAC: 8652FF52 00FFFFFF
	s_cmp_lt_u32 s82, s66                                      // 000000011BB4: BF0A4252
	s_cselect_b32 s20, s36, s60                                // 000000011BB8: 85143C24
	v_readlane_b32 s82, v3, 3                                  // 000000011BBC: D2890052 00010703
	s_and_b32 s82, s82, 0xffffff                               // 000000011BC4: 8652FF52 00FFFFFF
	s_cmp_lt_u32 s82, s66                                      // 000000011BCC: BF0A4252
	s_cselect_b32 s21, s36, s60                                // 000000011BD0: 85153C24
	s_mov_b64 exec, s[20:21]                                   // 000000011BD4: BEFE0114
	global_atomic_add_f32 v6, v63, s[8:9] offset:8             // 000000011BD8: DD348008 00083F06
	global_atomic_add_f32 v6, v67, s[8:9] offset:264           // 000000011BE0: DD348108 00084306
	global_atomic_add_f32 v6, v71, s[8:9] offset:520           // 000000011BE8: DD348208 00084706
	global_atomic_add_f32 v6, v75, s[8:9] offset:776           // 000000011BF0: DD348308 00084B06
	s_mov_b64 exec, s[36:37]                                   // 000000011BF8: BEFE0124
	v_mov_b32_e32 v6, v48                                      // 000000011BFC: 7E0C0330
	s_mov_b64 s[60:61], 0                                      // 000000011C00: BEBC0180
	v_readlane_b32 s82, v3, 4                                  // 000000011C04: D2890052 00010903
	s_and_b32 s82, s82, 0xffffff                               // 000000011C0C: 8652FF52 00FFFFFF
	s_cmp_lt_u32 s82, s66                                      // 000000011C14: BF0A4252
	s_cselect_b32 s20, s36, s60                                // 000000011C18: 85143C24
	v_readlane_b32 s82, v3, 5                                  // 000000011C1C: D2890052 00010B03
	s_and_b32 s82, s82, 0xffffff                               // 000000011C24: 8652FF52 00FFFFFF
	s_cmp_lt_u32 s82, s66                                      // 000000011C2C: BF0A4252
	s_cselect_b32 s21, s36, s60                                // 000000011C30: 85153C24
	s_mov_b64 exec, s[20:21]                                   // 000000011C34: BEFE0114
	global_atomic_add_f32 v6, v78, s[8:9] offset:8             // 000000011C38: DD348008 00084E06
	global_atomic_add_f32 v6, v82, s[8:9] offset:264           // 000000011C40: DD348108 00085206
	global_atomic_add_f32 v6, v86, s[8:9] offset:520           // 000000011C48: DD348208 00085606
	global_atomic_add_f32 v6, v90, s[8:9] offset:776           // 000000011C50: DD348308 00085A06
	s_mov_b64 exec, s[36:37]                                   // 000000011C58: BEFE0124
	v_mov_b32_e32 v6, v49                                      // 000000011C5C: 7E0C0331
	s_mov_b64 s[60:61], 0                                      // 000000011C60: BEBC0180
	v_readlane_b32 s82, v3, 6                                  // 000000011C64: D2890052 00010D03
	s_and_b32 s82, s82, 0xffffff                               // 000000011C6C: 8652FF52 00FFFFFF
	s_cmp_lt_u32 s82, s66                                      // 000000011C74: BF0A4252
	s_cselect_b32 s20, s36, s60                                // 000000011C78: 85143C24
	v_readlane_b32 s82, v3, 7                                  // 000000011C7C: D2890052 00010F03
	s_and_b32 s82, s82, 0xffffff                               // 000000011C84: 8652FF52 00FFFFFF
	s_cmp_lt_u32 s82, s66                                      // 000000011C8C: BF0A4252
	s_cselect_b32 s21, s36, s60                                // 000000011C90: 85153C24
	s_mov_b64 exec, s[20:21]                                   // 000000011C94: BEFE0114
	global_atomic_add_f32 v6, v79, s[8:9] offset:8             // 000000011C98: DD348008 00084F06
	global_atomic_add_f32 v6, v83, s[8:9] offset:264           // 000000011CA0: DD348108 00085306
	global_atomic_add_f32 v6, v87, s[8:9] offset:520           // 000000011CA8: DD348208 00085706
	global_atomic_add_f32 v6, v91, s[8:9] offset:776           // 000000011CB0: DD348308 00085B06
	s_mov_b64 exec, s[36:37]                                   // 000000011CB8: BEFE0124
	v_mov_b32_e32 v6, v50                                      // 000000011CBC: 7E0C0332
	s_mov_b64 s[60:61], 0                                      // 000000011CC0: BEBC0180
	v_readlane_b32 s82, v3, 8                                  // 000000011CC4: D2890052 00011103
	s_and_b32 s82, s82, 0xffffff                               // 000000011CCC: 8652FF52 00FFFFFF
	s_cmp_lt_u32 s82, s66                                      // 000000011CD4: BF0A4252
	s_cselect_b32 s20, s36, s60                                // 000000011CD8: 85143C24
	v_readlane_b32 s82, v3, 9                                  // 000000011CDC: D2890052 00011303
	s_and_b32 s82, s82, 0xffffff                               // 000000011CE4: 8652FF52 00FFFFFF
	s_cmp_lt_u32 s82, s66                                      // 000000011CEC: BF0A4252
	s_cselect_b32 s21, s36, s60                                // 000000011CF0: 85153C24
	s_mov_b64 exec, s[20:21]                                   // 000000011CF4: BEFE0114
	global_atomic_add_f32 v6, v94, s[8:9] offset:8             // 000000011CF8: DD348008 00085E06
	global_atomic_add_f32 v6, v98, s[8:9] offset:264           // 000000011D00: DD348108 00086206
	global_atomic_add_f32 v6, v102, s[8:9] offset:520          // 000000011D08: DD348208 00086606
	global_atomic_add_f32 v6, v106, s[8:9] offset:776          // 000000011D10: DD348308 00086A06
	s_mov_b64 exec, s[36:37]                                   // 000000011D18: BEFE0124
	v_mov_b32_e32 v6, v51                                      // 000000011D1C: 7E0C0333
	s_mov_b64 s[60:61], 0                                      // 000000011D20: BEBC0180
	v_readlane_b32 s82, v3, 10                                 // 000000011D24: D2890052 00011503
	s_and_b32 s82, s82, 0xffffff                               // 000000011D2C: 8652FF52 00FFFFFF
	s_cmp_lt_u32 s82, s66                                      // 000000011D34: BF0A4252
	s_cselect_b32 s20, s36, s60                                // 000000011D38: 85143C24
	v_readlane_b32 s82, v3, 11                                 // 000000011D3C: D2890052 00011703
	s_and_b32 s82, s82, 0xffffff                               // 000000011D44: 8652FF52 00FFFFFF
	s_cmp_lt_u32 s82, s66                                      // 000000011D4C: BF0A4252
	s_cselect_b32 s21, s36, s60                                // 000000011D50: 85153C24
	s_mov_b64 exec, s[20:21]                                   // 000000011D54: BEFE0114
	global_atomic_add_f32 v6, v95, s[8:9] offset:8             // 000000011D58: DD348008 00085F06
	global_atomic_add_f32 v6, v99, s[8:9] offset:264           // 000000011D60: DD348108 00086306
	global_atomic_add_f32 v6, v103, s[8:9] offset:520          // 000000011D68: DD348208 00086706
	global_atomic_add_f32 v6, v107, s[8:9] offset:776          // 000000011D70: DD348308 00086B06
	s_mov_b64 exec, s[36:37]                                   // 000000011D78: BEFE0124
	v_mov_b32_e32 v6, v52                                      // 000000011D7C: 7E0C0334
	s_mov_b64 s[60:61], 0                                      // 000000011D80: BEBC0180
	v_readlane_b32 s82, v3, 12                                 // 000000011D84: D2890052 00011903
	s_and_b32 s82, s82, 0xffffff                               // 000000011D8C: 8652FF52 00FFFFFF
	s_cmp_lt_u32 s82, s66                                      // 000000011D94: BF0A4252
	s_cselect_b32 s20, s36, s60                                // 000000011D98: 85143C24
	v_readlane_b32 s82, v3, 13                                 // 000000011D9C: D2890052 00011B03
	s_and_b32 s82, s82, 0xffffff                               // 000000011DA4: 8652FF52 00FFFFFF
	s_cmp_lt_u32 s82, s66                                      // 000000011DAC: BF0A4252
	s_cselect_b32 s21, s36, s60                                // 000000011DB0: 85153C24
	s_mov_b64 exec, s[20:21]                                   // 000000011DB4: BEFE0114
	global_atomic_add_f32 v6, v110, s[8:9] offset:8            // 000000011DB8: DD348008 00086E06
	global_atomic_add_f32 v6, v114, s[8:9] offset:264          // 000000011DC0: DD348108 00087206
	global_atomic_add_f32 v6, v118, s[8:9] offset:520          // 000000011DC8: DD348208 00087606
	global_atomic_add_f32 v6, v122, s[8:9] offset:776          // 000000011DD0: DD348308 00087A06
	s_mov_b64 exec, s[36:37]                                   // 000000011DD8: BEFE0124
	v_mov_b32_e32 v6, v53                                      // 000000011DDC: 7E0C0335
	s_mov_b64 s[60:61], 0                                      // 000000011DE0: BEBC0180
	v_readlane_b32 s82, v3, 14                                 // 000000011DE4: D2890052 00011D03
	s_and_b32 s82, s82, 0xffffff                               // 000000011DEC: 8652FF52 00FFFFFF
	s_cmp_lt_u32 s82, s66                                      // 000000011DF4: BF0A4252
	s_cselect_b32 s20, s36, s60                                // 000000011DF8: 85143C24
	v_readlane_b32 s82, v3, 15                                 // 000000011DFC: D2890052 00011F03
	s_and_b32 s82, s82, 0xffffff                               // 000000011E04: 8652FF52 00FFFFFF
	s_cmp_lt_u32 s82, s66                                      // 000000011E0C: BF0A4252
	s_cselect_b32 s21, s36, s60                                // 000000011E10: 85153C24
	s_mov_b64 exec, s[20:21]                                   // 000000011E14: BEFE0114
	global_atomic_add_f32 v6, v111, s[8:9] offset:8            // 000000011E18: DD348008 00086F06
	global_atomic_add_f32 v6, v115, s[8:9] offset:264          // 000000011E20: DD348108 00087306
	global_atomic_add_f32 v6, v119, s[8:9] offset:520          // 000000011E28: DD348208 00087706
	global_atomic_add_f32 v6, v123, s[8:9] offset:776          // 000000011E30: DD348308 00087B06
	s_mov_b64 exec, s[36:37]                                   // 000000011E38: BEFE0124
	ds_write_b64 v20, v[124:125]                               // 000000011E3C: D89A0000 00007C14
	ds_write_b64 v20, v[128:129] offset:8704                   // 000000011E44: D89A2200 00008014
	ds_write_b64 v20, v[132:133] offset:17408                  // 000000011E4C: D89A4400 00008414
	ds_write_b64 v20, v[136:137] offset:26112                  // 000000011E54: D89A6600 00008814
	ds_write_b64 v20, v[140:141] offset:2176                   // 000000011E5C: D89A0880 00008C14
	ds_write_b64 v20, v[144:145] offset:10880                  // 000000011E64: D89A2A80 00009014
	ds_write_b64 v20, v[148:149] offset:19584                  // 000000011E6C: D89A4C80 00009414
	ds_write_b64 v20, v[152:153] offset:28288                  // 000000011E74: D89A6E80 00009814
	ds_write_b64 v20, v[156:157] offset:4352                   // 000000011E7C: D89A1100 00009C14
	ds_write_b64 v20, v[160:161] offset:13056                  // 000000011E84: D89A3300 0000A014
	ds_write_b64 v20, v[164:165] offset:21760                  // 000000011E8C: D89A5500 0000A414
	ds_write_b64 v20, v[168:169] offset:30464                  // 000000011E94: D89A7700 0000A814
	ds_write_b64 v20, v[172:173] offset:6528                   // 000000011E9C: D89A1980 0000AC14
	ds_write_b64 v20, v[176:177] offset:15232                  // 000000011EA4: D89A3B80 0000B014
	ds_write_b64 v20, v[180:181] offset:23936                  // 000000011EAC: D89A5D80 0000B414
	ds_write_b64 v20, v[184:185] offset:32640                  // 000000011EB4: D89A7F80 0000B814
	s_waitcnt lgkmcnt(0)                                       // 000000011EBC: BF8CC07F
	s_barrier                                                  // 000000011EC0: BF8A0000
	ds_read_b32 v124, v21                                      // 000000011EC4: D86C0000 7C000015
	ds_read_b32 v125, v21 offset:64                            // 000000011ECC: D86C0040 7D000015
	ds_read_b32 v128, v21 offset:2176                          // 000000011ED4: D86C0880 80000015
	ds_read_b32 v129, v21 offset:2240                          // 000000011EDC: D86C08C0 81000015
	ds_read_b32 v132, v21 offset:4352                          // 000000011EE4: D86C1100 84000015
	ds_read_b32 v133, v21 offset:4416                          // 000000011EEC: D86C1140 85000015
	ds_read_b32 v136, v21 offset:6528                          // 000000011EF4: D86C1980 88000015
	ds_read_b32 v137, v21 offset:6592                          // 000000011EFC: D86C19C0 89000015
	ds_read_b32 v140, v21 offset:8704                          // 000000011F04: D86C2200 8C000015
	ds_read_b32 v141, v21 offset:8768                          // 000000011F0C: D86C2240 8D000015
	ds_read_b32 v144, v21 offset:10880                         // 000000011F14: D86C2A80 90000015
	ds_read_b32 v145, v21 offset:10944                         // 000000011F1C: D86C2AC0 91000015
	ds_read_b32 v148, v21 offset:13056                         // 000000011F24: D86C3300 94000015
	ds_read_b32 v149, v21 offset:13120                         // 000000011F2C: D86C3340 95000015
	ds_read_b32 v152, v21 offset:15232                         // 000000011F34: D86C3B80 98000015
	ds_read_b32 v153, v21 offset:15296                         // 000000011F3C: D86C3BC0 99000015
	ds_read_b32 v156, v21 offset:17408                         // 000000011F44: D86C4400 9C000015
	ds_read_b32 v157, v21 offset:17472                         // 000000011F4C: D86C4440 9D000015
	ds_read_b32 v160, v21 offset:19584                         // 000000011F54: D86C4C80 A0000015
	ds_read_b32 v161, v21 offset:19648                         // 000000011F5C: D86C4CC0 A1000015
	ds_read_b32 v164, v21 offset:21760                         // 000000011F64: D86C5500 A4000015
	ds_read_b32 v165, v21 offset:21824                         // 000000011F6C: D86C5540 A5000015
	ds_read_b32 v168, v21 offset:23936                         // 000000011F74: D86C5D80 A8000015
	ds_read_b32 v169, v21 offset:24000                         // 000000011F7C: D86C5DC0 A9000015
	ds_read_b32 v172, v21 offset:26112                         // 000000011F84: D86C6600 AC000015
	ds_read_b32 v173, v21 offset:26176                         // 000000011F8C: D86C6640 AD000015
	ds_read_b32 v176, v21 offset:28288                         // 000000011F94: D86C6E80 B0000015
	ds_read_b32 v177, v21 offset:28352                         // 000000011F9C: D86C6EC0 B1000015
	ds_read_b32 v180, v21 offset:30464                         // 000000011FA4: D86C7700 B4000015
	ds_read_b32 v181, v21 offset:30528                         // 000000011FAC: D86C7740 B5000015
	ds_read_b32 v184, v21 offset:32640                         // 000000011FB4: D86C7F80 B8000015
	ds_read_b32 v185, v21 offset:32704                         // 000000011FBC: D86C7FC0 B9000015
	s_mul_i32 s60, s65, 4                                      // 000000011FC4: 923C8441
	s_add_u32 s8, s60, s8                                      // 000000011FC8: 8008083C
	s_addc_u32 s9, 0, s9                                       // 000000011FCC: 82090980
	s_waitcnt lgkmcnt(0)                                       // 000000011FD0: BF8CC07F
	v_mov_b32_e32 v7, 0                                        // 000000011FD4: 7E0E0280
	s_mov_b64 exec, s[36:37]                                   // 000000011FD8: BEFE0124
	v_mov_b32_e32 v6, v46                                      // 000000011FDC: 7E0C032E
	s_mov_b64 s[60:61], 0                                      // 000000011FE0: BEBC0180
	v_readlane_b32 s82, v3, 0                                  // 000000011FE4: D2890052 00010103
	s_and_b32 s82, s82, 0xffffff                               // 000000011FEC: 8652FF52 00FFFFFF
	s_cmp_lt_u32 s82, s66                                      // 000000011FF4: BF0A4252
	s_cselect_b32 s20, s36, s60                                // 000000011FF8: 85143C24
	v_readlane_b32 s82, v3, 1                                  // 000000011FFC: D2890052 00010303
	s_and_b32 s82, s82, 0xffffff                               // 000000012004: 8652FF52 00FFFFFF
	s_cmp_lt_u32 s82, s66                                      // 00000001200C: BF0A4252
	s_cselect_b32 s21, s36, s60                                // 000000012010: 85153C24
	s_mov_b64 exec, s[20:21]                                   // 000000012014: BEFE0114
	global_atomic_add_f32 v6, v124, s[8:9]                     // 000000012018: DD348000 00087C06
	global_atomic_add_f32 v6, v128, s[8:9] offset:256          // 000000012020: DD348100 00088006
	global_atomic_add_f32 v6, v132, s[8:9] offset:512          // 000000012028: DD348200 00088406
	global_atomic_add_f32 v6, v136, s[8:9] offset:768          // 000000012030: DD348300 00088806
	s_mov_b64 exec, s[36:37]                                   // 000000012038: BEFE0124
	v_mov_b32_e32 v6, v47                                      // 00000001203C: 7E0C032F
	s_mov_b64 s[60:61], 0                                      // 000000012040: BEBC0180
	v_readlane_b32 s82, v3, 2                                  // 000000012044: D2890052 00010503
	s_and_b32 s82, s82, 0xffffff                               // 00000001204C: 8652FF52 00FFFFFF
	s_cmp_lt_u32 s82, s66                                      // 000000012054: BF0A4252
	s_cselect_b32 s20, s36, s60                                // 000000012058: 85143C24
	v_readlane_b32 s82, v3, 3                                  // 00000001205C: D2890052 00010703
	s_and_b32 s82, s82, 0xffffff                               // 000000012064: 8652FF52 00FFFFFF
	s_cmp_lt_u32 s82, s66                                      // 00000001206C: BF0A4252
	s_cselect_b32 s21, s36, s60                                // 000000012070: 85153C24
	s_mov_b64 exec, s[20:21]                                   // 000000012074: BEFE0114
	global_atomic_add_f32 v6, v125, s[8:9]                     // 000000012078: DD348000 00087D06
	global_atomic_add_f32 v6, v129, s[8:9] offset:256          // 000000012080: DD348100 00088106
	global_atomic_add_f32 v6, v133, s[8:9] offset:512          // 000000012088: DD348200 00088506
	global_atomic_add_f32 v6, v137, s[8:9] offset:768          // 000000012090: DD348300 00088906
	s_mov_b64 exec, s[36:37]                                   // 000000012098: BEFE0124
	v_mov_b32_e32 v6, v48                                      // 00000001209C: 7E0C0330
	s_mov_b64 s[60:61], 0                                      // 0000000120A0: BEBC0180
	v_readlane_b32 s82, v3, 4                                  // 0000000120A4: D2890052 00010903
	s_and_b32 s82, s82, 0xffffff                               // 0000000120AC: 8652FF52 00FFFFFF
	s_cmp_lt_u32 s82, s66                                      // 0000000120B4: BF0A4252
	s_cselect_b32 s20, s36, s60                                // 0000000120B8: 85143C24
	v_readlane_b32 s82, v3, 5                                  // 0000000120BC: D2890052 00010B03
	s_and_b32 s82, s82, 0xffffff                               // 0000000120C4: 8652FF52 00FFFFFF
	s_cmp_lt_u32 s82, s66                                      // 0000000120CC: BF0A4252
	s_cselect_b32 s21, s36, s60                                // 0000000120D0: 85153C24
	s_mov_b64 exec, s[20:21]                                   // 0000000120D4: BEFE0114
	global_atomic_add_f32 v6, v140, s[8:9]                     // 0000000120D8: DD348000 00088C06
	global_atomic_add_f32 v6, v144, s[8:9] offset:256          // 0000000120E0: DD348100 00089006
	global_atomic_add_f32 v6, v148, s[8:9] offset:512          // 0000000120E8: DD348200 00089406
	global_atomic_add_f32 v6, v152, s[8:9] offset:768          // 0000000120F0: DD348300 00089806
	s_mov_b64 exec, s[36:37]                                   // 0000000120F8: BEFE0124
	v_mov_b32_e32 v6, v49                                      // 0000000120FC: 7E0C0331
	s_mov_b64 s[60:61], 0                                      // 000000012100: BEBC0180
	v_readlane_b32 s82, v3, 6                                  // 000000012104: D2890052 00010D03
	s_and_b32 s82, s82, 0xffffff                               // 00000001210C: 8652FF52 00FFFFFF
	s_cmp_lt_u32 s82, s66                                      // 000000012114: BF0A4252
	s_cselect_b32 s20, s36, s60                                // 000000012118: 85143C24
	v_readlane_b32 s82, v3, 7                                  // 00000001211C: D2890052 00010F03
	s_and_b32 s82, s82, 0xffffff                               // 000000012124: 8652FF52 00FFFFFF
	s_cmp_lt_u32 s82, s66                                      // 00000001212C: BF0A4252
	s_cselect_b32 s21, s36, s60                                // 000000012130: 85153C24
	s_mov_b64 exec, s[20:21]                                   // 000000012134: BEFE0114
	global_atomic_add_f32 v6, v141, s[8:9]                     // 000000012138: DD348000 00088D06
	global_atomic_add_f32 v6, v145, s[8:9] offset:256          // 000000012140: DD348100 00089106
	global_atomic_add_f32 v6, v149, s[8:9] offset:512          // 000000012148: DD348200 00089506
	global_atomic_add_f32 v6, v153, s[8:9] offset:768          // 000000012150: DD348300 00089906
	s_mov_b64 exec, s[36:37]                                   // 000000012158: BEFE0124
	v_mov_b32_e32 v6, v50                                      // 00000001215C: 7E0C0332
	s_mov_b64 s[60:61], 0                                      // 000000012160: BEBC0180
	v_readlane_b32 s82, v3, 8                                  // 000000012164: D2890052 00011103
	s_and_b32 s82, s82, 0xffffff                               // 00000001216C: 8652FF52 00FFFFFF
	s_cmp_lt_u32 s82, s66                                      // 000000012174: BF0A4252
	s_cselect_b32 s20, s36, s60                                // 000000012178: 85143C24
	v_readlane_b32 s82, v3, 9                                  // 00000001217C: D2890052 00011303
	s_and_b32 s82, s82, 0xffffff                               // 000000012184: 8652FF52 00FFFFFF
	s_cmp_lt_u32 s82, s66                                      // 00000001218C: BF0A4252
	s_cselect_b32 s21, s36, s60                                // 000000012190: 85153C24
	s_mov_b64 exec, s[20:21]                                   // 000000012194: BEFE0114
	global_atomic_add_f32 v6, v156, s[8:9]                     // 000000012198: DD348000 00089C06
	global_atomic_add_f32 v6, v160, s[8:9] offset:256          // 0000000121A0: DD348100 0008A006
	global_atomic_add_f32 v6, v164, s[8:9] offset:512          // 0000000121A8: DD348200 0008A406
	global_atomic_add_f32 v6, v168, s[8:9] offset:768          // 0000000121B0: DD348300 0008A806
	s_mov_b64 exec, s[36:37]                                   // 0000000121B8: BEFE0124
	v_mov_b32_e32 v6, v51                                      // 0000000121BC: 7E0C0333
	s_mov_b64 s[60:61], 0                                      // 0000000121C0: BEBC0180
	v_readlane_b32 s82, v3, 10                                 // 0000000121C4: D2890052 00011503
	s_and_b32 s82, s82, 0xffffff                               // 0000000121CC: 8652FF52 00FFFFFF
	s_cmp_lt_u32 s82, s66                                      // 0000000121D4: BF0A4252
	s_cselect_b32 s20, s36, s60                                // 0000000121D8: 85143C24
	v_readlane_b32 s82, v3, 11                                 // 0000000121DC: D2890052 00011703
	s_and_b32 s82, s82, 0xffffff                               // 0000000121E4: 8652FF52 00FFFFFF
	s_cmp_lt_u32 s82, s66                                      // 0000000121EC: BF0A4252
	s_cselect_b32 s21, s36, s60                                // 0000000121F0: 85153C24
	s_mov_b64 exec, s[20:21]                                   // 0000000121F4: BEFE0114
	global_atomic_add_f32 v6, v157, s[8:9]                     // 0000000121F8: DD348000 00089D06
	global_atomic_add_f32 v6, v161, s[8:9] offset:256          // 000000012200: DD348100 0008A106
	global_atomic_add_f32 v6, v165, s[8:9] offset:512          // 000000012208: DD348200 0008A506
	global_atomic_add_f32 v6, v169, s[8:9] offset:768          // 000000012210: DD348300 0008A906
	s_mov_b64 exec, s[36:37]                                   // 000000012218: BEFE0124
	v_mov_b32_e32 v6, v52                                      // 00000001221C: 7E0C0334
	s_mov_b64 s[60:61], 0                                      // 000000012220: BEBC0180
	v_readlane_b32 s82, v3, 12                                 // 000000012224: D2890052 00011903
	s_and_b32 s82, s82, 0xffffff                               // 00000001222C: 8652FF52 00FFFFFF
	s_cmp_lt_u32 s82, s66                                      // 000000012234: BF0A4252
	s_cselect_b32 s20, s36, s60                                // 000000012238: 85143C24
	v_readlane_b32 s82, v3, 13                                 // 00000001223C: D2890052 00011B03
	s_and_b32 s82, s82, 0xffffff                               // 000000012244: 8652FF52 00FFFFFF
	s_cmp_lt_u32 s82, s66                                      // 00000001224C: BF0A4252
	s_cselect_b32 s21, s36, s60                                // 000000012250: 85153C24
	s_mov_b64 exec, s[20:21]                                   // 000000012254: BEFE0114
	global_atomic_add_f32 v6, v172, s[8:9]                     // 000000012258: DD348000 0008AC06
	global_atomic_add_f32 v6, v176, s[8:9] offset:256          // 000000012260: DD348100 0008B006
	global_atomic_add_f32 v6, v180, s[8:9] offset:512          // 000000012268: DD348200 0008B406
	global_atomic_add_f32 v6, v184, s[8:9] offset:768          // 000000012270: DD348300 0008B806
	s_mov_b64 exec, s[36:37]                                   // 000000012278: BEFE0124
	v_mov_b32_e32 v6, v53                                      // 00000001227C: 7E0C0335
	s_mov_b64 s[60:61], 0                                      // 000000012280: BEBC0180
	v_readlane_b32 s82, v3, 14                                 // 000000012284: D2890052 00011D03
	s_and_b32 s82, s82, 0xffffff                               // 00000001228C: 8652FF52 00FFFFFF
	s_cmp_lt_u32 s82, s66                                      // 000000012294: BF0A4252
	s_cselect_b32 s20, s36, s60                                // 000000012298: 85143C24
	v_readlane_b32 s82, v3, 15                                 // 00000001229C: D2890052 00011F03
	s_and_b32 s82, s82, 0xffffff                               // 0000000122A4: 8652FF52 00FFFFFF
	s_cmp_lt_u32 s82, s66                                      // 0000000122AC: BF0A4252
	s_cselect_b32 s21, s36, s60                                // 0000000122B0: 85153C24
	s_mov_b64 exec, s[20:21]                                   // 0000000122B4: BEFE0114
	global_atomic_add_f32 v6, v173, s[8:9]                     // 0000000122B8: DD348000 0008AD06
	global_atomic_add_f32 v6, v177, s[8:9] offset:256          // 0000000122C0: DD348100 0008B106
	global_atomic_add_f32 v6, v181, s[8:9] offset:512          // 0000000122C8: DD348200 0008B506
	global_atomic_add_f32 v6, v185, s[8:9] offset:768          // 0000000122D0: DD348300 0008B906
	s_mov_b64 exec, s[36:37]                                   // 0000000122D8: BEFE0124
	ds_write_b64 v20, v[126:127]                               // 0000000122DC: D89A0000 00007E14
	ds_write_b64 v20, v[130:131] offset:8704                   // 0000000122E4: D89A2200 00008214
	ds_write_b64 v20, v[134:135] offset:17408                  // 0000000122EC: D89A4400 00008614
	ds_write_b64 v20, v[138:139] offset:26112                  // 0000000122F4: D89A6600 00008A14
	ds_write_b64 v20, v[142:143] offset:2176                   // 0000000122FC: D89A0880 00008E14
	ds_write_b64 v20, v[146:147] offset:10880                  // 000000012304: D89A2A80 00009214
	ds_write_b64 v20, v[150:151] offset:19584                  // 00000001230C: D89A4C80 00009614
	ds_write_b64 v20, v[154:155] offset:28288                  // 000000012314: D89A6E80 00009A14
	ds_write_b64 v20, v[158:159] offset:4352                   // 00000001231C: D89A1100 00009E14
	ds_write_b64 v20, v[162:163] offset:13056                  // 000000012324: D89A3300 0000A214
	ds_write_b64 v20, v[166:167] offset:21760                  // 00000001232C: D89A5500 0000A614
	ds_write_b64 v20, v[170:171] offset:30464                  // 000000012334: D89A7700 0000AA14
	ds_write_b64 v20, v[174:175] offset:6528                   // 00000001233C: D89A1980 0000AE14
	ds_write_b64 v20, v[178:179] offset:15232                  // 000000012344: D89A3B80 0000B214
	ds_write_b64 v20, v[182:183] offset:23936                  // 00000001234C: D89A5D80 0000B614
	ds_write_b64 v20, v[186:187] offset:32640                  // 000000012354: D89A7F80 0000BA14
	s_waitcnt lgkmcnt(0)                                       // 00000001235C: BF8CC07F
	s_barrier                                                  // 000000012360: BF8A0000
	ds_read_b32 v126, v21                                      // 000000012364: D86C0000 7E000015
	ds_read_b32 v127, v21 offset:64                            // 00000001236C: D86C0040 7F000015
	ds_read_b32 v130, v21 offset:2176                          // 000000012374: D86C0880 82000015
	ds_read_b32 v131, v21 offset:2240                          // 00000001237C: D86C08C0 83000015
	ds_read_b32 v134, v21 offset:4352                          // 000000012384: D86C1100 86000015
	ds_read_b32 v135, v21 offset:4416                          // 00000001238C: D86C1140 87000015
	ds_read_b32 v138, v21 offset:6528                          // 000000012394: D86C1980 8A000015
	ds_read_b32 v139, v21 offset:6592                          // 00000001239C: D86C19C0 8B000015
	ds_read_b32 v142, v21 offset:8704                          // 0000000123A4: D86C2200 8E000015
	ds_read_b32 v143, v21 offset:8768                          // 0000000123AC: D86C2240 8F000015
	ds_read_b32 v146, v21 offset:10880                         // 0000000123B4: D86C2A80 92000015
	ds_read_b32 v147, v21 offset:10944                         // 0000000123BC: D86C2AC0 93000015
	ds_read_b32 v150, v21 offset:13056                         // 0000000123C4: D86C3300 96000015
	ds_read_b32 v151, v21 offset:13120                         // 0000000123CC: D86C3340 97000015
	ds_read_b32 v154, v21 offset:15232                         // 0000000123D4: D86C3B80 9A000015
	ds_read_b32 v155, v21 offset:15296                         // 0000000123DC: D86C3BC0 9B000015
	ds_read_b32 v158, v21 offset:17408                         // 0000000123E4: D86C4400 9E000015
	ds_read_b32 v159, v21 offset:17472                         // 0000000123EC: D86C4440 9F000015
	ds_read_b32 v162, v21 offset:19584                         // 0000000123F4: D86C4C80 A2000015
	ds_read_b32 v163, v21 offset:19648                         // 0000000123FC: D86C4CC0 A3000015
	ds_read_b32 v166, v21 offset:21760                         // 000000012404: D86C5500 A6000015
	ds_read_b32 v167, v21 offset:21824                         // 00000001240C: D86C5540 A7000015
	ds_read_b32 v170, v21 offset:23936                         // 000000012414: D86C5D80 AA000015
	ds_read_b32 v171, v21 offset:24000                         // 00000001241C: D86C5DC0 AB000015
	ds_read_b32 v174, v21 offset:26112                         // 000000012424: D86C6600 AE000015
	ds_read_b32 v175, v21 offset:26176                         // 00000001242C: D86C6640 AF000015
	ds_read_b32 v178, v21 offset:28288                         // 000000012434: D86C6E80 B2000015
	ds_read_b32 v179, v21 offset:28352                         // 00000001243C: D86C6EC0 B3000015
	ds_read_b32 v182, v21 offset:30464                         // 000000012444: D86C7700 B6000015
	ds_read_b32 v183, v21 offset:30528                         // 00000001244C: D86C7740 B7000015
	ds_read_b32 v186, v21 offset:32640                         // 000000012454: D86C7F80 BA000015
	ds_read_b32 v187, v21 offset:32704                         // 00000001245C: D86C7FC0 BB000015
	s_waitcnt lgkmcnt(0)                                       // 000000012464: BF8CC07F
	v_mov_b32_e32 v7, 0                                        // 000000012468: 7E0E0280
	s_mov_b64 exec, s[36:37]                                   // 00000001246C: BEFE0124
	v_mov_b32_e32 v6, v46                                      // 000000012470: 7E0C032E
	s_mov_b64 s[60:61], 0                                      // 000000012474: BEBC0180
	v_readlane_b32 s82, v3, 0                                  // 000000012478: D2890052 00010103
	s_and_b32 s82, s82, 0xffffff                               // 000000012480: 8652FF52 00FFFFFF
	s_cmp_lt_u32 s82, s66                                      // 000000012488: BF0A4252
	s_cselect_b32 s20, s36, s60                                // 00000001248C: 85143C24
	v_readlane_b32 s82, v3, 1                                  // 000000012490: D2890052 00010303
	s_and_b32 s82, s82, 0xffffff                               // 000000012498: 8652FF52 00FFFFFF
	s_cmp_lt_u32 s82, s66                                      // 0000000124A0: BF0A4252
	s_cselect_b32 s21, s36, s60                                // 0000000124A4: 85153C24
	s_mov_b64 exec, s[20:21]                                   // 0000000124A8: BEFE0114
	global_atomic_add_f32 v6, v126, s[8:9] offset:8            // 0000000124AC: DD348008 00087E06
	global_atomic_add_f32 v6, v130, s[8:9] offset:264          // 0000000124B4: DD348108 00088206
	global_atomic_add_f32 v6, v134, s[8:9] offset:520          // 0000000124BC: DD348208 00088606
	global_atomic_add_f32 v6, v138, s[8:9] offset:776          // 0000000124C4: DD348308 00088A06
	s_mov_b64 exec, s[36:37]                                   // 0000000124CC: BEFE0124
	v_mov_b32_e32 v6, v47                                      // 0000000124D0: 7E0C032F
	s_mov_b64 s[60:61], 0                                      // 0000000124D4: BEBC0180
	v_readlane_b32 s82, v3, 2                                  // 0000000124D8: D2890052 00010503
	s_and_b32 s82, s82, 0xffffff                               // 0000000124E0: 8652FF52 00FFFFFF
	s_cmp_lt_u32 s82, s66                                      // 0000000124E8: BF0A4252
	s_cselect_b32 s20, s36, s60                                // 0000000124EC: 85143C24
	v_readlane_b32 s82, v3, 3                                  // 0000000124F0: D2890052 00010703
	s_and_b32 s82, s82, 0xffffff                               // 0000000124F8: 8652FF52 00FFFFFF
	s_cmp_lt_u32 s82, s66                                      // 000000012500: BF0A4252
	s_cselect_b32 s21, s36, s60                                // 000000012504: 85153C24
	s_mov_b64 exec, s[20:21]                                   // 000000012508: BEFE0114
	global_atomic_add_f32 v6, v127, s[8:9] offset:8            // 00000001250C: DD348008 00087F06
	global_atomic_add_f32 v6, v131, s[8:9] offset:264          // 000000012514: DD348108 00088306
	global_atomic_add_f32 v6, v135, s[8:9] offset:520          // 00000001251C: DD348208 00088706
	global_atomic_add_f32 v6, v139, s[8:9] offset:776          // 000000012524: DD348308 00088B06
	s_mov_b64 exec, s[36:37]                                   // 00000001252C: BEFE0124
	v_mov_b32_e32 v6, v48                                      // 000000012530: 7E0C0330
	s_mov_b64 s[60:61], 0                                      // 000000012534: BEBC0180
	v_readlane_b32 s82, v3, 4                                  // 000000012538: D2890052 00010903
	s_and_b32 s82, s82, 0xffffff                               // 000000012540: 8652FF52 00FFFFFF
	s_cmp_lt_u32 s82, s66                                      // 000000012548: BF0A4252
	s_cselect_b32 s20, s36, s60                                // 00000001254C: 85143C24
	v_readlane_b32 s82, v3, 5                                  // 000000012550: D2890052 00010B03
	s_and_b32 s82, s82, 0xffffff                               // 000000012558: 8652FF52 00FFFFFF
	s_cmp_lt_u32 s82, s66                                      // 000000012560: BF0A4252
	s_cselect_b32 s21, s36, s60                                // 000000012564: 85153C24
	s_mov_b64 exec, s[20:21]                                   // 000000012568: BEFE0114
	global_atomic_add_f32 v6, v142, s[8:9] offset:8            // 00000001256C: DD348008 00088E06
	global_atomic_add_f32 v6, v146, s[8:9] offset:264          // 000000012574: DD348108 00089206
	global_atomic_add_f32 v6, v150, s[8:9] offset:520          // 00000001257C: DD348208 00089606
	global_atomic_add_f32 v6, v154, s[8:9] offset:776          // 000000012584: DD348308 00089A06
	s_mov_b64 exec, s[36:37]                                   // 00000001258C: BEFE0124
	v_mov_b32_e32 v6, v49                                      // 000000012590: 7E0C0331
	s_mov_b64 s[60:61], 0                                      // 000000012594: BEBC0180
	v_readlane_b32 s82, v3, 6                                  // 000000012598: D2890052 00010D03
	s_and_b32 s82, s82, 0xffffff                               // 0000000125A0: 8652FF52 00FFFFFF
	s_cmp_lt_u32 s82, s66                                      // 0000000125A8: BF0A4252
	s_cselect_b32 s20, s36, s60                                // 0000000125AC: 85143C24
	v_readlane_b32 s82, v3, 7                                  // 0000000125B0: D2890052 00010F03
	s_and_b32 s82, s82, 0xffffff                               // 0000000125B8: 8652FF52 00FFFFFF
	s_cmp_lt_u32 s82, s66                                      // 0000000125C0: BF0A4252
	s_cselect_b32 s21, s36, s60                                // 0000000125C4: 85153C24
	s_mov_b64 exec, s[20:21]                                   // 0000000125C8: BEFE0114
	global_atomic_add_f32 v6, v143, s[8:9] offset:8            // 0000000125CC: DD348008 00088F06
	global_atomic_add_f32 v6, v147, s[8:9] offset:264          // 0000000125D4: DD348108 00089306
	global_atomic_add_f32 v6, v151, s[8:9] offset:520          // 0000000125DC: DD348208 00089706
	global_atomic_add_f32 v6, v155, s[8:9] offset:776          // 0000000125E4: DD348308 00089B06
	s_mov_b64 exec, s[36:37]                                   // 0000000125EC: BEFE0124
	v_mov_b32_e32 v6, v50                                      // 0000000125F0: 7E0C0332
	s_mov_b64 s[60:61], 0                                      // 0000000125F4: BEBC0180
	v_readlane_b32 s82, v3, 8                                  // 0000000125F8: D2890052 00011103
	s_and_b32 s82, s82, 0xffffff                               // 000000012600: 8652FF52 00FFFFFF
	s_cmp_lt_u32 s82, s66                                      // 000000012608: BF0A4252
	s_cselect_b32 s20, s36, s60                                // 00000001260C: 85143C24
	v_readlane_b32 s82, v3, 9                                  // 000000012610: D2890052 00011303
	s_and_b32 s82, s82, 0xffffff                               // 000000012618: 8652FF52 00FFFFFF
	s_cmp_lt_u32 s82, s66                                      // 000000012620: BF0A4252
	s_cselect_b32 s21, s36, s60                                // 000000012624: 85153C24
	s_mov_b64 exec, s[20:21]                                   // 000000012628: BEFE0114
	global_atomic_add_f32 v6, v158, s[8:9] offset:8            // 00000001262C: DD348008 00089E06
	global_atomic_add_f32 v6, v162, s[8:9] offset:264          // 000000012634: DD348108 0008A206
	global_atomic_add_f32 v6, v166, s[8:9] offset:520          // 00000001263C: DD348208 0008A606
	global_atomic_add_f32 v6, v170, s[8:9] offset:776          // 000000012644: DD348308 0008AA06
	s_mov_b64 exec, s[36:37]                                   // 00000001264C: BEFE0124
	v_mov_b32_e32 v6, v51                                      // 000000012650: 7E0C0333
	s_mov_b64 s[60:61], 0                                      // 000000012654: BEBC0180
	v_readlane_b32 s82, v3, 10                                 // 000000012658: D2890052 00011503
	s_and_b32 s82, s82, 0xffffff                               // 000000012660: 8652FF52 00FFFFFF
	s_cmp_lt_u32 s82, s66                                      // 000000012668: BF0A4252
	s_cselect_b32 s20, s36, s60                                // 00000001266C: 85143C24
	v_readlane_b32 s82, v3, 11                                 // 000000012670: D2890052 00011703
	s_and_b32 s82, s82, 0xffffff                               // 000000012678: 8652FF52 00FFFFFF
	s_cmp_lt_u32 s82, s66                                      // 000000012680: BF0A4252
	s_cselect_b32 s21, s36, s60                                // 000000012684: 85153C24
	s_mov_b64 exec, s[20:21]                                   // 000000012688: BEFE0114
	global_atomic_add_f32 v6, v159, s[8:9] offset:8            // 00000001268C: DD348008 00089F06
	global_atomic_add_f32 v6, v163, s[8:9] offset:264          // 000000012694: DD348108 0008A306
	global_atomic_add_f32 v6, v167, s[8:9] offset:520          // 00000001269C: DD348208 0008A706
	global_atomic_add_f32 v6, v171, s[8:9] offset:776          // 0000000126A4: DD348308 0008AB06
	s_mov_b64 exec, s[36:37]                                   // 0000000126AC: BEFE0124
	v_mov_b32_e32 v6, v52                                      // 0000000126B0: 7E0C0334
	s_mov_b64 s[60:61], 0                                      // 0000000126B4: BEBC0180
	v_readlane_b32 s82, v3, 12                                 // 0000000126B8: D2890052 00011903
	s_and_b32 s82, s82, 0xffffff                               // 0000000126C0: 8652FF52 00FFFFFF
	s_cmp_lt_u32 s82, s66                                      // 0000000126C8: BF0A4252
	s_cselect_b32 s20, s36, s60                                // 0000000126CC: 85143C24
	v_readlane_b32 s82, v3, 13                                 // 0000000126D0: D2890052 00011B03
	s_and_b32 s82, s82, 0xffffff                               // 0000000126D8: 8652FF52 00FFFFFF
	s_cmp_lt_u32 s82, s66                                      // 0000000126E0: BF0A4252
	s_cselect_b32 s21, s36, s60                                // 0000000126E4: 85153C24
	s_mov_b64 exec, s[20:21]                                   // 0000000126E8: BEFE0114
	global_atomic_add_f32 v6, v174, s[8:9] offset:8            // 0000000126EC: DD348008 0008AE06
	global_atomic_add_f32 v6, v178, s[8:9] offset:264          // 0000000126F4: DD348108 0008B206
	global_atomic_add_f32 v6, v182, s[8:9] offset:520          // 0000000126FC: DD348208 0008B606
	global_atomic_add_f32 v6, v186, s[8:9] offset:776          // 000000012704: DD348308 0008BA06
	s_mov_b64 exec, s[36:37]                                   // 00000001270C: BEFE0124
	v_mov_b32_e32 v6, v53                                      // 000000012710: 7E0C0335
	s_mov_b64 s[60:61], 0                                      // 000000012714: BEBC0180
	v_readlane_b32 s82, v3, 14                                 // 000000012718: D2890052 00011D03
	s_and_b32 s82, s82, 0xffffff                               // 000000012720: 8652FF52 00FFFFFF
	s_cmp_lt_u32 s82, s66                                      // 000000012728: BF0A4252
	s_cselect_b32 s20, s36, s60                                // 00000001272C: 85143C24
	v_readlane_b32 s82, v3, 15                                 // 000000012730: D2890052 00011F03
	s_and_b32 s82, s82, 0xffffff                               // 000000012738: 8652FF52 00FFFFFF
	s_cmp_lt_u32 s82, s66                                      // 000000012740: BF0A4252
	s_cselect_b32 s21, s36, s60                                // 000000012744: 85153C24
	s_mov_b64 exec, s[20:21]                                   // 000000012748: BEFE0114
	global_atomic_add_f32 v6, v175, s[8:9] offset:8            // 00000001274C: DD348008 0008AF06
	global_atomic_add_f32 v6, v179, s[8:9] offset:264          // 000000012754: DD348108 0008B306
	global_atomic_add_f32 v6, v183, s[8:9] offset:520          // 00000001275C: DD348208 0008B706
	global_atomic_add_f32 v6, v187, s[8:9] offset:776          // 000000012764: DD348308 0008BB06
	s_mov_b64 exec, s[36:37]                                   // 00000001276C: BEFE0124
	s_branch label_3F60                                        // 000000012770: BF820000

0000000000012774 <label_3F60>:
	s_waitcnt vmcnt(0) expcnt(0) lgkmcnt(0)                    // 000000012774: BF8C0000
	s_endpgm                                                   // 000000012778: BF810000
